;; amdgpu-corpus repo=ROCm/rocFFT kind=compiled arch=gfx1030 opt=O3
	.text
	.amdgcn_target "amdgcn-amd-amdhsa--gfx1030"
	.amdhsa_code_object_version 6
	.protected	fft_rtc_back_len546_factors_13_3_7_2_wgs_117_tpt_39_halfLds_half_op_CI_CI_sbrr_dirReg ; -- Begin function fft_rtc_back_len546_factors_13_3_7_2_wgs_117_tpt_39_halfLds_half_op_CI_CI_sbrr_dirReg
	.globl	fft_rtc_back_len546_factors_13_3_7_2_wgs_117_tpt_39_halfLds_half_op_CI_CI_sbrr_dirReg
	.p2align	8
	.type	fft_rtc_back_len546_factors_13_3_7_2_wgs_117_tpt_39_halfLds_half_op_CI_CI_sbrr_dirReg,@function
fft_rtc_back_len546_factors_13_3_7_2_wgs_117_tpt_39_halfLds_half_op_CI_CI_sbrr_dirReg: ; @fft_rtc_back_len546_factors_13_3_7_2_wgs_117_tpt_39_halfLds_half_op_CI_CI_sbrr_dirReg
; %bb.0:
	s_clause 0x1
	s_load_dwordx4 s[16:19], s[4:5], 0x18
	s_load_dwordx4 s[12:15], s[4:5], 0x0
	v_mul_u32_u24_e32 v1, 0x691, v0
	v_mov_b32_e32 v6, 0
	v_mov_b32_e32 v10, 0
	v_mov_b32_e32 v11, 0
	v_mov_b32_e32 v4, v10
	v_lshrrev_b32_e32 v1, 16, v1
	s_load_dwordx4 s[8:11], s[4:5], 0x58
	s_waitcnt lgkmcnt(0)
	s_load_dwordx2 s[20:21], s[16:17], 0x0
	s_load_dwordx2 s[2:3], s[18:19], 0x0
	v_mad_u64_u32 v[1:2], null, s6, 3, v[1:2]
	v_mov_b32_e32 v2, v6
	v_cmp_lt_u64_e64 s0, s[14:15], 2
	v_mov_b32_e32 v5, v11
	v_mov_b32_e32 v9, v2
	;; [unrolled: 1-line block ×3, first 2 shown]
	s_and_b32 vcc_lo, exec_lo, s0
	s_cbranch_vccnz .LBB0_8
; %bb.1:
	s_load_dwordx2 s[0:1], s[4:5], 0x10
	v_mov_b32_e32 v10, 0
	v_mov_b32_e32 v11, 0
	s_add_u32 s6, s18, 8
	v_mov_b32_e32 v3, v2
	s_addc_u32 s7, s19, 0
	v_mov_b32_e32 v4, v10
	v_mov_b32_e32 v2, v1
	s_add_u32 s22, s16, 8
	v_mov_b32_e32 v5, v11
	s_addc_u32 s23, s17, 0
	s_mov_b64 s[26:27], 1
	s_waitcnt lgkmcnt(0)
	s_add_u32 s24, s0, 8
	s_addc_u32 s25, s1, 0
.LBB0_2:                                ; =>This Inner Loop Header: Depth=1
	s_load_dwordx2 s[28:29], s[24:25], 0x0
                                        ; implicit-def: $vgpr8_vgpr9
	s_mov_b32 s0, exec_lo
	s_waitcnt lgkmcnt(0)
	v_or_b32_e32 v7, s29, v3
	v_cmpx_ne_u64_e32 0, v[6:7]
	s_xor_b32 s1, exec_lo, s0
	s_cbranch_execz .LBB0_4
; %bb.3:                                ;   in Loop: Header=BB0_2 Depth=1
	v_cvt_f32_u32_e32 v7, s28
	v_cvt_f32_u32_e32 v8, s29
	s_sub_u32 s0, 0, s28
	s_subb_u32 s30, 0, s29
	v_fmac_f32_e32 v7, 0x4f800000, v8
	v_rcp_f32_e32 v7, v7
	v_mul_f32_e32 v7, 0x5f7ffffc, v7
	v_mul_f32_e32 v8, 0x2f800000, v7
	v_trunc_f32_e32 v8, v8
	v_fmac_f32_e32 v7, 0xcf800000, v8
	v_cvt_u32_f32_e32 v8, v8
	v_cvt_u32_f32_e32 v7, v7
	v_mul_lo_u32 v9, s0, v8
	v_mul_hi_u32 v12, s0, v7
	v_mul_lo_u32 v13, s30, v7
	v_add_nc_u32_e32 v9, v12, v9
	v_mul_lo_u32 v12, s0, v7
	v_add_nc_u32_e32 v9, v9, v13
	v_mul_hi_u32 v13, v7, v12
	v_mul_lo_u32 v14, v7, v9
	v_mul_hi_u32 v15, v7, v9
	v_mul_hi_u32 v16, v8, v12
	v_mul_lo_u32 v12, v8, v12
	v_mul_hi_u32 v17, v8, v9
	v_mul_lo_u32 v9, v8, v9
	v_add_co_u32 v13, vcc_lo, v13, v14
	v_add_co_ci_u32_e32 v14, vcc_lo, 0, v15, vcc_lo
	v_add_co_u32 v12, vcc_lo, v13, v12
	v_add_co_ci_u32_e32 v12, vcc_lo, v14, v16, vcc_lo
	v_add_co_ci_u32_e32 v13, vcc_lo, 0, v17, vcc_lo
	v_add_co_u32 v9, vcc_lo, v12, v9
	v_add_co_ci_u32_e32 v12, vcc_lo, 0, v13, vcc_lo
	v_add_co_u32 v7, vcc_lo, v7, v9
	v_add_co_ci_u32_e32 v8, vcc_lo, v8, v12, vcc_lo
	v_mul_hi_u32 v9, s0, v7
	v_mul_lo_u32 v13, s30, v7
	v_mul_lo_u32 v12, s0, v8
	v_add_nc_u32_e32 v9, v9, v12
	v_mul_lo_u32 v12, s0, v7
	v_add_nc_u32_e32 v9, v9, v13
	v_mul_hi_u32 v13, v7, v12
	v_mul_lo_u32 v14, v7, v9
	v_mul_hi_u32 v15, v7, v9
	v_mul_hi_u32 v16, v8, v12
	v_mul_lo_u32 v12, v8, v12
	v_mul_hi_u32 v17, v8, v9
	v_mul_lo_u32 v9, v8, v9
	v_add_co_u32 v13, vcc_lo, v13, v14
	v_add_co_ci_u32_e32 v14, vcc_lo, 0, v15, vcc_lo
	v_add_co_u32 v12, vcc_lo, v13, v12
	v_add_co_ci_u32_e32 v12, vcc_lo, v14, v16, vcc_lo
	v_add_co_ci_u32_e32 v13, vcc_lo, 0, v17, vcc_lo
	v_add_co_u32 v9, vcc_lo, v12, v9
	v_add_co_ci_u32_e32 v12, vcc_lo, 0, v13, vcc_lo
	v_add_co_u32 v9, vcc_lo, v7, v9
	v_add_co_ci_u32_e32 v14, vcc_lo, v8, v12, vcc_lo
	v_mul_hi_u32 v16, v2, v9
	v_mad_u64_u32 v[12:13], null, v3, v9, 0
	v_mad_u64_u32 v[7:8], null, v2, v14, 0
	v_mad_u64_u32 v[14:15], null, v3, v14, 0
	v_add_co_u32 v7, vcc_lo, v16, v7
	v_add_co_ci_u32_e32 v8, vcc_lo, 0, v8, vcc_lo
	v_add_co_u32 v7, vcc_lo, v7, v12
	v_add_co_ci_u32_e32 v7, vcc_lo, v8, v13, vcc_lo
	v_add_co_ci_u32_e32 v8, vcc_lo, 0, v15, vcc_lo
	v_add_co_u32 v12, vcc_lo, v7, v14
	v_add_co_ci_u32_e32 v9, vcc_lo, 0, v8, vcc_lo
	v_mul_lo_u32 v13, s29, v12
	v_mad_u64_u32 v[7:8], null, s28, v12, 0
	v_mul_lo_u32 v14, s28, v9
	v_sub_co_u32 v7, vcc_lo, v2, v7
	v_add3_u32 v8, v8, v14, v13
	v_sub_nc_u32_e32 v13, v3, v8
	v_subrev_co_ci_u32_e64 v13, s0, s29, v13, vcc_lo
	v_add_co_u32 v14, s0, v12, 2
	v_add_co_ci_u32_e64 v15, s0, 0, v9, s0
	v_sub_co_u32 v16, s0, v7, s28
	v_sub_co_ci_u32_e32 v8, vcc_lo, v3, v8, vcc_lo
	v_subrev_co_ci_u32_e64 v13, s0, 0, v13, s0
	v_cmp_le_u32_e32 vcc_lo, s28, v16
	v_cmp_eq_u32_e64 s0, s29, v8
	v_cndmask_b32_e64 v16, 0, -1, vcc_lo
	v_cmp_le_u32_e32 vcc_lo, s29, v13
	v_cndmask_b32_e64 v17, 0, -1, vcc_lo
	v_cmp_le_u32_e32 vcc_lo, s28, v7
	;; [unrolled: 2-line block ×3, first 2 shown]
	v_cndmask_b32_e64 v18, 0, -1, vcc_lo
	v_cmp_eq_u32_e32 vcc_lo, s29, v13
	v_cndmask_b32_e64 v7, v18, v7, s0
	v_cndmask_b32_e32 v13, v17, v16, vcc_lo
	v_add_co_u32 v16, vcc_lo, v12, 1
	v_add_co_ci_u32_e32 v17, vcc_lo, 0, v9, vcc_lo
	v_cmp_ne_u32_e32 vcc_lo, 0, v13
	v_cndmask_b32_e32 v8, v17, v15, vcc_lo
	v_cndmask_b32_e32 v13, v16, v14, vcc_lo
	v_cmp_ne_u32_e32 vcc_lo, 0, v7
	v_cndmask_b32_e32 v9, v9, v8, vcc_lo
	v_cndmask_b32_e32 v8, v12, v13, vcc_lo
.LBB0_4:                                ;   in Loop: Header=BB0_2 Depth=1
	s_andn2_saveexec_b32 s0, s1
	s_cbranch_execz .LBB0_6
; %bb.5:                                ;   in Loop: Header=BB0_2 Depth=1
	v_cvt_f32_u32_e32 v7, s28
	s_sub_i32 s1, 0, s28
	v_rcp_iflag_f32_e32 v7, v7
	v_mul_f32_e32 v7, 0x4f7ffffe, v7
	v_cvt_u32_f32_e32 v7, v7
	v_mul_lo_u32 v8, s1, v7
	v_mul_hi_u32 v8, v7, v8
	v_add_nc_u32_e32 v7, v7, v8
	v_mul_hi_u32 v7, v2, v7
	v_mul_lo_u32 v8, v7, s28
	v_add_nc_u32_e32 v9, 1, v7
	v_sub_nc_u32_e32 v8, v2, v8
	v_subrev_nc_u32_e32 v12, s28, v8
	v_cmp_le_u32_e32 vcc_lo, s28, v8
	v_cndmask_b32_e32 v8, v8, v12, vcc_lo
	v_cndmask_b32_e32 v7, v7, v9, vcc_lo
	v_cmp_le_u32_e32 vcc_lo, s28, v8
	v_add_nc_u32_e32 v9, 1, v7
	v_cndmask_b32_e32 v8, v7, v9, vcc_lo
	v_mov_b32_e32 v9, v6
.LBB0_6:                                ;   in Loop: Header=BB0_2 Depth=1
	s_or_b32 exec_lo, exec_lo, s0
	v_mul_lo_u32 v7, v9, s28
	v_mul_lo_u32 v14, v8, s29
	s_load_dwordx2 s[0:1], s[22:23], 0x0
	v_mad_u64_u32 v[12:13], null, v8, s28, 0
	s_load_dwordx2 s[28:29], s[6:7], 0x0
	s_add_u32 s26, s26, 1
	s_addc_u32 s27, s27, 0
	s_add_u32 s6, s6, 8
	s_addc_u32 s7, s7, 0
	s_add_u32 s22, s22, 8
	v_add3_u32 v7, v13, v14, v7
	v_sub_co_u32 v2, vcc_lo, v2, v12
	s_addc_u32 s23, s23, 0
	s_add_u32 s24, s24, 8
	v_sub_co_ci_u32_e32 v3, vcc_lo, v3, v7, vcc_lo
	s_addc_u32 s25, s25, 0
	s_waitcnt lgkmcnt(0)
	v_mul_lo_u32 v7, s0, v3
	v_mul_lo_u32 v12, s1, v2
	v_mad_u64_u32 v[10:11], null, s0, v2, v[10:11]
	v_mul_lo_u32 v3, s28, v3
	v_mul_lo_u32 v13, s29, v2
	v_mad_u64_u32 v[4:5], null, s28, v2, v[4:5]
	v_cmp_ge_u64_e64 s0, s[26:27], s[14:15]
	v_add3_u32 v11, v12, v11, v7
	v_add3_u32 v5, v13, v5, v3
	s_and_b32 vcc_lo, exec_lo, s0
	s_cbranch_vccnz .LBB0_8
; %bb.7:                                ;   in Loop: Header=BB0_2 Depth=1
	v_mov_b32_e32 v2, v8
	v_mov_b32_e32 v3, v9
	s_branch .LBB0_2
.LBB0_8:
	s_load_dwordx2 s[0:1], s[4:5], 0x28
	v_mul_hi_u32 v48, 0x6906907, v0
	s_lshl_b64 s[6:7], s[14:15], 3
                                        ; implicit-def: $sgpr14
                                        ; implicit-def: $vgpr6
	s_add_u32 s4, s18, s6
	s_addc_u32 s5, s19, s7
	s_waitcnt lgkmcnt(0)
	v_cmp_gt_u64_e32 vcc_lo, s[0:1], v[8:9]
	v_cmp_le_u64_e64 s0, s[0:1], v[8:9]
	s_and_saveexec_b32 s1, s0
	s_xor_b32 s0, exec_lo, s1
; %bb.9:
	v_mul_u32_u24_e32 v2, 39, v48
	s_mov_b32 s14, 0
                                        ; implicit-def: $vgpr48
                                        ; implicit-def: $vgpr10_vgpr11
	v_sub_nc_u32_e32 v6, v0, v2
                                        ; implicit-def: $vgpr0
; %bb.10:
	s_or_saveexec_b32 s1, s0
	s_load_dwordx2 s[4:5], s[4:5], 0x0
	v_mov_b32_e32 v16, s14
	v_mov_b32_e32 v50, s14
                                        ; implicit-def: $vgpr47
                                        ; implicit-def: $vgpr46
                                        ; implicit-def: $vgpr61
                                        ; implicit-def: $vgpr2
                                        ; implicit-def: $vgpr62
                                        ; implicit-def: $vgpr3
                                        ; implicit-def: $vgpr60
                                        ; implicit-def: $vgpr7
                                        ; implicit-def: $vgpr59
                                        ; implicit-def: $vgpr12
                                        ; implicit-def: $vgpr58
                                        ; implicit-def: $vgpr13
                                        ; implicit-def: $vgpr57
                                        ; implicit-def: $vgpr14
                                        ; implicit-def: $vgpr56
                                        ; implicit-def: $vgpr15
                                        ; implicit-def: $vgpr55
                                        ; implicit-def: $vgpr17
                                        ; implicit-def: $vgpr54
                                        ; implicit-def: $vgpr18
                                        ; implicit-def: $vgpr53
                                        ; implicit-def: $vgpr19
                                        ; implicit-def: $vgpr52
                                        ; implicit-def: $vgpr20
                                        ; implicit-def: $vgpr51
                                        ; implicit-def: $vgpr21
                                        ; implicit-def: $vgpr44
                                        ; implicit-def: $vgpr33
                                        ; implicit-def: $vgpr43
                                        ; implicit-def: $vgpr27
                                        ; implicit-def: $vgpr41
                                        ; implicit-def: $vgpr26
                                        ; implicit-def: $vgpr39
                                        ; implicit-def: $vgpr25
                                        ; implicit-def: $vgpr36
                                        ; implicit-def: $vgpr24
                                        ; implicit-def: $vgpr31
                                        ; implicit-def: $vgpr22
                                        ; implicit-def: $vgpr28
                                        ; implicit-def: $vgpr45
                                        ; implicit-def: $vgpr30
                                        ; implicit-def: $vgpr42
                                        ; implicit-def: $vgpr35
                                        ; implicit-def: $vgpr40
                                        ; implicit-def: $vgpr38
                                        ; implicit-def: $vgpr34
                                        ; implicit-def: $vgpr37
                                        ; implicit-def: $vgpr29
                                        ; implicit-def: $vgpr32
                                        ; implicit-def: $vgpr23
	s_xor_b32 exec_lo, exec_lo, s1
	s_cbranch_execz .LBB0_14
; %bb.11:
	s_add_u32 s6, s16, s6
	s_addc_u32 s7, s17, s7
	v_mul_u32_u24_e32 v2, 39, v48
	s_load_dwordx2 s[6:7], s[6:7], 0x0
	v_lshlrev_b64 v[10:11], 2, v[10:11]
	v_mov_b32_e32 v50, 0
                                        ; implicit-def: $vgpr38
                                        ; implicit-def: $vgpr40
                                        ; implicit-def: $vgpr42
                                        ; implicit-def: $vgpr45
                                        ; implicit-def: $vgpr39
                                        ; implicit-def: $vgpr41
                                        ; implicit-def: $vgpr43
                                        ; implicit-def: $vgpr44
	v_sub_nc_u32_e32 v6, v0, v2
	v_mad_u64_u32 v[2:3], null, s20, v6, 0
	v_add_nc_u32_e32 v24, 0x54, v6
	v_add_nc_u32_e32 v21, 42, v6
	v_add_nc_u32_e32 v25, 0x7e, v6
	v_add_nc_u32_e32 v26, 0xa8, v6
	v_add_nc_u32_e32 v27, 0xd2, v6
	v_mad_u64_u32 v[14:15], null, s20, v24, 0
	v_mov_b32_e32 v0, v3
	v_mad_u64_u32 v[12:13], null, s20, v21, 0
	s_waitcnt lgkmcnt(0)
	v_mul_lo_u32 v3, s7, v8
	v_mul_lo_u32 v22, s6, v9
	v_mad_u64_u32 v[16:17], null, s6, v8, 0
	v_mad_u64_u32 v[18:19], null, s21, v6, v[0:1]
	;; [unrolled: 1-line block ×3, first 2 shown]
	v_mov_b32_e32 v7, v15
	v_mov_b32_e32 v0, v13
	v_add3_u32 v17, v17, v22, v3
	v_add_nc_u32_e32 v28, 0xfc, v6
	v_mov_b32_e32 v3, v18
	v_add_nc_u32_e32 v29, 0x126, v6
	v_mad_u64_u32 v[21:22], null, s21, v21, v[0:1]
	v_lshlrev_b64 v[15:16], 2, v[16:17]
	v_mad_u64_u32 v[17:18], null, s21, v24, v[7:8]
	v_mad_u64_u32 v[22:23], null, s20, v26, 0
	v_mov_b32_e32 v7, v20
	v_add_co_u32 v0, s0, s8, v15
	v_add_co_ci_u32_e64 v16, s0, s9, v16, s0
	v_mov_b32_e32 v15, v17
	v_add_co_u32 v0, s0, v0, v10
	v_add_co_ci_u32_e64 v10, s0, v16, v11, s0
	v_mad_u64_u32 v[16:17], null, s21, v25, v[7:8]
	v_mov_b32_e32 v13, v21
	v_mov_b32_e32 v7, v23
	v_lshlrev_b64 v[2:3], 2, v[2:3]
	v_mad_u64_u32 v[24:25], null, s20, v29, 0
	v_lshlrev_b64 v[11:12], 2, v[12:13]
	v_lshlrev_b64 v[13:14], 2, v[14:15]
	v_mov_b32_e32 v20, v16
	v_mad_u64_u32 v[15:16], null, s21, v26, v[7:8]
	v_mad_u64_u32 v[16:17], null, s20, v27, 0
	v_lshlrev_b64 v[18:19], 2, v[19:20]
	v_mad_u64_u32 v[20:21], null, s20, v28, 0
	v_add_co_u32 v2, s0, v0, v2
	v_mov_b32_e32 v23, v15
	v_mov_b32_e32 v7, v17
	v_add_co_ci_u32_e64 v3, s0, v10, v3, s0
	v_add_co_u32 v11, s0, v0, v11
	v_mad_u64_u32 v[26:27], null, s21, v27, v[7:8]
	v_mov_b32_e32 v7, v21
	v_mov_b32_e32 v15, v25
	v_add_co_ci_u32_e64 v12, s0, v10, v12, s0
	v_add_co_u32 v13, s0, v0, v13
	v_lshlrev_b64 v[21:22], 2, v[22:23]
	v_add_co_ci_u32_e64 v14, s0, v10, v14, s0
	v_mov_b32_e32 v17, v26
	v_mad_u64_u32 v[25:26], null, s21, v28, v[7:8]
	v_add_co_u32 v18, s0, v0, v18
	v_mad_u64_u32 v[26:27], null, s21, v29, v[15:16]
	v_add_nc_u32_e32 v31, 0x150, v6
	v_add_co_ci_u32_e64 v19, s0, v10, v19, s0
	v_add_co_u32 v27, s0, v0, v21
	v_add_co_ci_u32_e64 v28, s0, v10, v22, s0
	v_mad_u64_u32 v[22:23], null, s20, v31, 0
	v_mov_b32_e32 v21, v25
	v_mov_b32_e32 v25, v26
	v_add_nc_u32_e32 v26, 0x17a, v6
	v_lshlrev_b64 v[15:16], 2, v[16:17]
	v_add_nc_u32_e32 v34, 0x1a4, v6
	v_lshlrev_b64 v[20:21], 2, v[20:21]
	v_mov_b32_e32 v7, v23
	v_mad_u64_u32 v[29:30], null, s20, v26, 0
	v_add_co_u32 v15, s0, v0, v15
	v_lshlrev_b64 v[24:25], 2, v[24:25]
	v_mad_u64_u32 v[31:32], null, s21, v31, v[7:8]
	v_add_co_ci_u32_e64 v16, s0, v10, v16, s0
	v_add_co_u32 v20, s0, v0, v20
	v_mov_b32_e32 v7, v30
	v_add_co_ci_u32_e64 v21, s0, v10, v21, s0
	v_add_co_u32 v24, s0, v0, v24
	v_add_co_ci_u32_e64 v25, s0, v10, v25, s0
	v_mov_b32_e32 v23, v31
	v_mad_u64_u32 v[30:31], null, s21, v26, v[7:8]
	s_clause 0x7
	global_load_dword v46, v[2:3], off
	global_load_dword v2, v[11:12], off
	;; [unrolled: 1-line block ×8, first 2 shown]
	v_mad_u64_u32 v[32:33], null, s20, v34, 0
	v_add_nc_u32_e32 v26, 0x1ce, v6
	v_add_nc_u32_e32 v31, 0x1f8, v6
                                        ; implicit-def: $vgpr28
                                        ; implicit-def: $vgpr27
	v_mov_b32_e32 v17, v33
	v_mad_u64_u32 v[36:37], null, s20, v31, 0
	v_mad_u64_u32 v[33:34], null, s21, v34, v[17:18]
	;; [unrolled: 1-line block ×3, first 2 shown]
	v_lshlrev_b64 v[16:17], 2, v[22:23]
	v_mov_b32_e32 v11, v35
	v_add_co_u32 v16, s0, v0, v16
	v_add_co_ci_u32_e64 v17, s0, v10, v17, s0
	s_waitcnt vmcnt(3)
	v_mad_u64_u32 v[18:19], null, s21, v26, v[11:12]
	v_mov_b32_e32 v11, v37
	v_lshlrev_b64 v[19:20], 2, v[29:30]
                                        ; implicit-def: $vgpr29
                                        ; implicit-def: $vgpr30
                                        ; implicit-def: $vgpr26
	v_mad_u64_u32 v[21:22], null, s21, v31, v[11:12]
	v_lshlrev_b64 v[22:23], 2, v[32:33]
	v_mov_b32_e32 v35, v18
	v_add_co_u32 v18, s0, v0, v19
	v_add_co_ci_u32_e64 v19, s0, v10, v20, s0
	v_mov_b32_e32 v37, v21
	v_lshlrev_b64 v[24:25], 2, v[34:35]
	v_add_co_u32 v20, s0, v0, v22
	v_add_co_ci_u32_e64 v21, s0, v10, v23, s0
	v_lshlrev_b64 v[22:23], 2, v[36:37]
	v_add_co_u32 v24, s0, v0, v24
	v_add_co_ci_u32_e64 v25, s0, v10, v25, s0
                                        ; implicit-def: $vgpr32
                                        ; implicit-def: $vgpr37
                                        ; implicit-def: $vgpr34
                                        ; implicit-def: $vgpr35
                                        ; implicit-def: $vgpr31
                                        ; implicit-def: $vgpr36
                                        ; implicit-def: $vgpr33
	v_add_co_u32 v22, s0, v0, v22
	v_add_co_ci_u32_e64 v23, s0, v10, v23, s0
	s_clause 0x4
	global_load_dword v17, v[16:17], off
	global_load_dword v18, v[18:19], off
	;; [unrolled: 1-line block ×5, first 2 shown]
	v_cmp_gt_u32_e64 s0, 3, v6
	v_mov_b32_e32 v16, 0
                                        ; implicit-def: $vgpr23
                                        ; implicit-def: $vgpr22
                                        ; implicit-def: $vgpr24
                                        ; implicit-def: $vgpr25
	s_and_saveexec_b32 s6, s0
	s_cbranch_execz .LBB0_13
; %bb.12:
	v_add_nc_u32_e32 v28, 39, v6
	v_add_nc_u32_e32 v31, 0x51, v6
	;; [unrolled: 1-line block ×5, first 2 shown]
	v_mad_u64_u32 v[22:23], null, s20, v28, 0
	v_mad_u64_u32 v[24:25], null, s20, v31, 0
	;; [unrolled: 1-line block ×3, first 2 shown]
	v_add_nc_u32_e32 v42, 0x14d, v6
	v_add_nc_u32_e32 v41, 0x123, v6
	v_mov_b32_e32 v11, v23
	v_add_nc_u32_e32 v45, 0x1a1, v6
	v_mov_b32_e32 v16, v25
	v_mad_u64_u32 v[37:38], null, s20, v42, 0
	v_mad_u64_u32 v[28:29], null, s21, v28, v[11:12]
	v_mov_b32_e32 v11, v27
	v_mad_u64_u32 v[29:30], null, s20, v35, 0
	s_waitcnt vmcnt(4)
	v_mad_u64_u32 v[31:32], null, s21, v31, v[16:17]
	v_add_nc_u32_e32 v16, 0xcf, v6
	v_mad_u64_u32 v[32:33], null, s21, v33, v[11:12]
	v_mov_b32_e32 v23, v28
	v_mov_b32_e32 v11, v30
	v_mad_u64_u32 v[33:34], null, s20, v16, 0
	v_mov_b32_e32 v25, v31
	v_lshlrev_b64 v[22:23], 2, v[22:23]
	v_mad_u64_u32 v[30:31], null, s21, v35, v[11:12]
	v_mad_u64_u32 v[35:36], null, s20, v39, 0
	v_mov_b32_e32 v11, v34
	v_mov_b32_e32 v27, v32
	v_lshlrev_b64 v[24:25], 2, v[24:25]
	v_add_co_u32 v22, s0, v0, v22
	v_mad_u64_u32 v[31:32], null, s21, v16, v[11:12]
	v_mov_b32_e32 v11, v36
	v_lshlrev_b64 v[28:29], 2, v[29:30]
	v_mov_b32_e32 v16, v38
	v_lshlrev_b64 v[26:27], 2, v[26:27]
	v_add_co_ci_u32_e64 v23, s0, v10, v23, s0
	v_mov_b32_e32 v34, v31
	v_mad_u64_u32 v[30:31], null, s20, v41, 0
	v_mad_u64_u32 v[39:40], null, s21, v39, v[11:12]
	v_add_co_u32 v24, s0, v0, v24
	v_add_co_ci_u32_e64 v25, s0, v10, v25, s0
	v_mov_b32_e32 v11, v31
	v_lshlrev_b64 v[31:32], 2, v[33:34]
	v_mov_b32_e32 v36, v39
	v_mad_u64_u32 v[38:39], null, s21, v42, v[16:17]
	v_add_nc_u32_e32 v16, 0x177, v6
	v_mad_u64_u32 v[33:34], null, s21, v41, v[11:12]
	v_add_co_u32 v26, s0, v0, v26
	v_mad_u64_u32 v[41:42], null, s20, v16, 0
	v_add_co_ci_u32_e64 v27, s0, v10, v27, s0
	v_add_co_u32 v28, s0, v0, v28
	v_add_nc_u32_e32 v47, 0x1cb, v6
	v_add_co_ci_u32_e64 v29, s0, v10, v29, s0
	v_mov_b32_e32 v11, v42
	v_add_co_u32 v39, s0, v0, v31
	v_mov_b32_e32 v31, v33
	v_lshlrev_b64 v[34:35], 2, v[35:36]
	v_mad_u64_u32 v[42:43], null, s21, v16, v[11:12]
	v_add_co_ci_u32_e64 v40, s0, v10, v32, s0
	v_lshlrev_b64 v[32:33], 2, v[37:38]
	v_mad_u64_u32 v[36:37], null, s20, v45, 0
	v_mad_u64_u32 v[43:44], null, s20, v47, 0
	v_lshlrev_b64 v[30:31], 2, v[30:31]
	v_add_co_u32 v34, s0, v0, v34
	v_add_co_ci_u32_e64 v35, s0, v10, v35, s0
	v_mov_b32_e32 v11, v37
	v_add_co_u32 v30, s0, v0, v30
	v_mov_b32_e32 v16, v44
	v_add_nc_u32_e32 v49, 0x1f5, v6
	v_add_co_ci_u32_e64 v31, s0, v10, v31, s0
	v_add_co_u32 v37, s0, v0, v32
	v_add_co_ci_u32_e64 v38, s0, v10, v33, s0
	v_mad_u64_u32 v[32:33], null, s21, v45, v[11:12]
	v_add_nc_u32_e32 v53, 0x21f, v6
	v_mad_u64_u32 v[44:45], null, s21, v47, v[16:17]
	v_mad_u64_u32 v[47:48], null, s20, v49, 0
	;; [unrolled: 1-line block ×3, first 2 shown]
	s_clause 0x7
	global_load_dword v50, v[22:23], off
	global_load_dword v33, v[24:25], off
	;; [unrolled: 1-line block ×8, first 2 shown]
	v_mov_b32_e32 v37, v32
	v_lshlrev_b64 v[28:29], 2, v[41:42]
	v_mov_b32_e32 v11, v48
	v_add_co_u32 v28, s0, v0, v28
	v_mad_u64_u32 v[30:31], null, s21, v49, v[11:12]
	v_mov_b32_e32 v11, v52
	v_lshlrev_b64 v[31:32], 2, v[36:37]
	v_add_co_ci_u32_e64 v29, s0, v10, v29, s0
	v_mad_u64_u32 v[34:35], null, s21, v53, v[11:12]
	v_mov_b32_e32 v48, v30
	v_lshlrev_b64 v[35:36], 2, v[43:44]
	v_add_co_u32 v30, s0, v0, v31
	v_add_co_ci_u32_e64 v31, s0, v10, v32, s0
	v_mov_b32_e32 v52, v34
	v_lshlrev_b64 v[37:38], 2, v[47:48]
	v_add_co_u32 v35, s0, v0, v35
	v_add_co_ci_u32_e64 v36, s0, v10, v36, s0
	v_lshlrev_b64 v[39:40], 2, v[51:52]
	v_add_co_u32 v37, s0, v0, v37
	v_add_co_ci_u32_e64 v38, s0, v10, v38, s0
	v_add_co_u32 v43, s0, v0, v39
	v_add_co_ci_u32_e64 v44, s0, v10, v40, s0
	s_clause 0x4
	global_load_dword v29, v[28:29], off
	global_load_dword v34, v[30:31], off
	;; [unrolled: 1-line block ×5, first 2 shown]
	s_waitcnt vmcnt(12)
	v_lshrrev_b32_e32 v16, 16, v50
	s_waitcnt vmcnt(11)
	v_lshrrev_b32_e32 v44, 16, v33
	;; [unrolled: 2-line block ×13, first 2 shown]
.LBB0_13:
	s_or_b32 exec_lo, exec_lo, s6
	v_lshrrev_b32_e32 v47, 16, v46
	v_lshrrev_b32_e32 v61, 16, v2
	;; [unrolled: 1-line block ×5, first 2 shown]
	s_waitcnt vmcnt(7)
	v_lshrrev_b32_e32 v58, 16, v13
	s_waitcnt vmcnt(6)
	v_lshrrev_b32_e32 v57, 16, v14
	;; [unrolled: 2-line block ×8, first 2 shown]
.LBB0_14:
	s_or_b32 exec_lo, exec_lo, s1
	v_sub_f16_e32 v0, v61, v51
	v_add_f16_e32 v11, v2, v21
	v_sub_f16_e32 v48, v62, v52
	v_add_f16_e32 v49, v3, v20
	v_sub_f16_e32 v64, v60, v53
	v_pk_mul_f16 v63, 0xba95b770, v0 op_sel_hi:[1,0]
	v_pk_mul_f16 v67, 0xbb7bbbf1, v0 op_sel_hi:[1,0]
	;; [unrolled: 1-line block ×4, first 2 shown]
	v_add_f16_e32 v65, v7, v19
	v_pk_fma_f16 v68, 0x388b3b15, v11, v63 op_sel_hi:[1,0,1]
	v_pk_fma_f16 v71, 0xb5ac2fb7, v11, v67 op_sel_hi:[1,0,1]
	;; [unrolled: 1-line block ×3, first 2 shown]
	v_sub_f16_e32 v69, v59, v54
	v_pk_mul_f16 v73, 0xb3a8bbf1, v64 op_sel_hi:[1,0]
	v_pk_add_f16 v68, v68, v46 op_sel_hi:[1,0]
	v_pk_add_f16 v71, v71, v46 op_sel_hi:[1,0]
	v_add_f16_e32 v75, v12, v18
	v_pk_mul_f16 v76, 0x394ebb7b, v69 op_sel_hi:[1,0]
	v_pk_fma_f16 v74, 0xbbc42fb7, v65, v73 op_sel_hi:[1,0,1]
	v_pk_add_f16 v68, v70, v68
	v_pk_fma_f16 v70, 0xb9fdbbc4, v49, v72 op_sel_hi:[1,0,1]
	v_mul_hi_u32 v10, 0xaaaaaaab, v1
	v_pk_mul_f16 v77, 0x37703b7b, v64 op_sel_hi:[1,0]
	v_add_f16_e32 v83, v13, v17
	v_pk_add_f16 v68, v74, v68
	v_pk_add_f16 v70, v70, v71
	v_sub_f16_e32 v71, v58, v55
	v_pk_fma_f16 v74, 0xb9fdb5ac, v75, v76 op_sel_hi:[1,0,1]
	v_pk_fma_f16 v78, 0x3b15b5ac, v65, v77 op_sel_hi:[1,0,1]
	v_lshrrev_b32_e32 v10, 1, v10
	v_pk_mul_f16 v82, 0xbbf13770, v69 op_sel_hi:[1,0]
	v_pk_mul_f16 v84, 0x3bf1b94e, v71 op_sel_hi:[1,0]
	v_pk_add_f16 v68, v74, v68
	v_pk_mul_f16 v0, 0xb3a8b94e, v0 op_sel_hi:[1,0]
	v_lshl_add_u32 v10, v10, 1, v10
	v_pk_add_f16 v70, v78, v70
	v_pk_fma_f16 v79, 0x2fb7b9fd, v83, v84 op_sel_hi:[1,0,1]
	v_pk_fma_f16 v74, 0x2fb73b15, v75, v82 op_sel_hi:[1,0,1]
	v_pk_mul_f16 v78, 0x33a8ba95, v71 op_sel_hi:[1,0]
	v_pk_mul_f16 v48, 0x37703bf1, v48 op_sel_hi:[1,0]
	v_sub_nc_u32_e32 v1, v1, v10
	v_pk_add_f16 v68, v79, v68
	v_pk_fma_f16 v79, 0xbbc4b9fd, v11, v0 op_sel_hi:[1,0,1]
	v_pk_add_f16 v10, v74, v70
	v_pk_fma_f16 v70, 0xbbc4388b, v83, v78 op_sel_hi:[1,0,1]
	v_sub_f16_e32 v74, v57, v56
	v_pk_fma_f16 v80, 0x3b152fb7, v49, v48 op_sel_hi:[1,0,1]
	v_pk_add_f16 v79, v79, v46 op_sel_hi:[1,0]
	v_pk_mul_f16 v64, 0xb94eba95, v64 op_sel_hi:[1,0]
	v_pk_add_f16 v10, v70, v10
	v_add_f16_e32 v70, v14, v15
	v_pk_mul_f16 v85, 0x3770b3a8, v74 op_sel_hi:[1,0]
	v_pk_fma_f16 v0, 0xbbc4b9fd, v11, v0 op_sel_hi:[1,0,1] neg_lo:[0,0,1] neg_hi:[0,0,1]
	v_pk_add_f16 v79, v80, v79
	v_pk_fma_f16 v80, 0xb9fd388b, v65, v64 op_sel_hi:[1,0,1]
	v_pk_mul_f16 v69, 0x3a9533a8, v69 op_sel_hi:[1,0]
	v_pk_mul_f16 v86, 0x3a95b94e, v74 op_sel_hi:[1,0]
	v_pk_fma_f16 v81, 0x3b15bbc4, v70, v85 op_sel_hi:[1,0,1]
	v_pk_add_f16 v0, v0, v46 op_sel_hi:[1,0]
	v_pk_fma_f16 v48, 0x3b152fb7, v49, v48 op_sel_hi:[1,0,1] neg_lo:[0,0,1] neg_hi:[0,0,1]
	v_pk_add_f16 v80, v80, v79
	v_pk_fma_f16 v88, 0x388bbbc4, v75, v69 op_sel_hi:[1,0,1]
	v_pk_mul_f16 v71, 0xbb7b3770, v71 op_sel_hi:[1,0]
	v_pk_fma_f16 v87, 0x388bb9fd, v70, v86 op_sel_hi:[1,0,1]
	v_pk_add_f16 v0, v48, v0
	v_pk_fma_f16 v48, 0xb9fd388b, v65, v64 op_sel_hi:[1,0,1] neg_lo:[0,0,1] neg_hi:[0,0,1]
	v_pk_add_f16 v79, v81, v68
	v_pk_add_f16 v64, v88, v80
	v_pk_fma_f16 v68, 0xb5ac3b15, v83, v71 op_sel_hi:[1,0,1]
	v_pk_add_f16 v80, v87, v10
	v_pk_add_f16 v0, v48, v0
	v_pk_fma_f16 v48, 0x388bbbc4, v75, v69 op_sel_hi:[1,0,1] neg_lo:[0,0,1] neg_hi:[0,0,1]
	v_pk_mul_f16 v74, 0x3bf1bb7b, v74 op_sel_hi:[1,0]
	v_pk_add_f16 v10, v68, v64
	v_pk_fma_f16 v64, 0xb5ac2fb7, v11, v67 op_sel_hi:[1,0,1] neg_lo:[0,0,1] neg_hi:[0,0,1]
	v_pk_fma_f16 v11, 0x388b3b15, v11, v63 op_sel_hi:[1,0,1] neg_lo:[0,0,1] neg_hi:[0,0,1]
	v_pk_add_f16 v0, v48, v0
	v_pk_fma_f16 v48, 0xb5ac3b15, v83, v71 op_sel_hi:[1,0,1] neg_lo:[0,0,1] neg_hi:[0,0,1]
	v_pk_fma_f16 v67, 0x2fb7b5ac, v70, v74 op_sel_hi:[1,0,1]
	v_pk_add_f16 v63, v64, v46 op_sel_hi:[1,0]
	v_pk_fma_f16 v64, 0xb9fdbbc4, v49, v72 op_sel_hi:[1,0,1] neg_lo:[0,0,1] neg_hi:[0,0,1]
	v_pk_fma_f16 v49, 0xb5ac388b, v49, v66 op_sel_hi:[1,0,1] neg_lo:[0,0,1] neg_hi:[0,0,1]
	v_pk_add_f16 v11, v11, v46 op_sel_hi:[1,0]
	v_pk_add_f16 v0, v48, v0
	v_pk_fma_f16 v48, 0x2fb7b5ac, v70, v74 op_sel_hi:[1,0,1] neg_lo:[0,0,1] neg_hi:[0,0,1]
	v_pk_add_f16 v63, v64, v63
	v_pk_fma_f16 v64, 0x3b15b5ac, v65, v77 op_sel_hi:[1,0,1] neg_lo:[0,0,1] neg_hi:[0,0,1]
	;; [unrolled: 2-line block ×3, first 2 shown]
	v_pk_add_f16 v81, v67, v10
	v_pk_add_f16 v10, v48, v0
	;; [unrolled: 1-line block ×3, first 2 shown]
	v_pk_fma_f16 v63, 0x2fb73b15, v75, v82 op_sel_hi:[1,0,1] neg_lo:[0,0,1] neg_hi:[0,0,1]
	v_pk_add_f16 v11, v49, v11
	v_pk_fma_f16 v49, 0xb9fdb5ac, v75, v76 op_sel_hi:[1,0,1] neg_lo:[0,0,1] neg_hi:[0,0,1]
	v_alignbit_b32 v82, v10, v10, 16
	v_add_f16_e32 v10, v33, v45
	v_pk_add_f16 v48, v63, v48
	v_pk_fma_f16 v63, 0xbbc4388b, v83, v78 op_sel_hi:[1,0,1] neg_lo:[0,0,1] neg_hi:[0,0,1]
	v_pk_add_f16 v11, v49, v11
	v_pk_fma_f16 v49, 0x2fb7b9fd, v83, v84 op_sel_hi:[1,0,1] neg_lo:[0,0,1] neg_hi:[0,0,1]
	v_sub_f16_e32 v78, v44, v28
	v_mul_f16_e32 v67, 0x3b15, v10
	v_pk_add_f16 v48, v63, v48
	v_pk_fma_f16 v63, 0x388bb9fd, v70, v86 op_sel_hi:[1,0,1] neg_lo:[0,0,1] neg_hi:[0,0,1]
	v_pk_add_f16 v49, v49, v11
	v_add_f16_e32 v11, v46, v2
	v_add_f16_e32 v46, v50, v33
	v_add_f16_e32 v64, v27, v42
	v_pk_fma_f16 v83, 0x3b15bbc4, v70, v85 op_sel_hi:[1,0,1] neg_lo:[0,0,1] neg_hi:[0,0,1]
	v_pk_add_f16 v48, v63, v48
	v_add_f16_e32 v11, v11, v3
	v_add_f16_e32 v46, v46, v27
	v_fmamk_f16 v63, v78, 0xb770, v67
	v_sub_f16_e32 v69, v43, v30
	v_mul_f16_e32 v70, 0x388b, v64
	v_add_f16_e32 v65, v11, v7
	v_add_f16_e32 v46, v46, v26
	;; [unrolled: 1-line block ×4, first 2 shown]
	v_fmamk_f16 v66, v69, 0xba95, v70
	v_add_f16_e32 v65, v65, v12
	v_add_f16_e32 v46, v46, v25
	v_sub_f16_e32 v74, v41, v35
	v_mul_f16_e32 v68, 0x2fb7, v11
	v_add_f16_e32 v63, v63, v66
	v_add_f16_e32 v71, v65, v13
	;; [unrolled: 1-line block ×4, first 2 shown]
	v_fmamk_f16 v66, v74, 0xbbf1, v68
	v_sub_f16_e32 v76, v39, v38
	v_add_f16_e32 v72, v71, v14
	v_add_f16_e32 v46, v46, v22
	v_mul_f16_e32 v71, 0xb5ac, v65
	v_add_f16_e32 v63, v63, v66
	v_add_f16_e32 v66, v24, v29
	;; [unrolled: 1-line block ×4, first 2 shown]
	v_fmamk_f16 v77, v76, 0xbb7b, v71
	v_sub_f16_e32 v75, v36, v37
	v_mul_f16_e32 v73, 0xb9fd, v66
	v_add_f16_e32 v72, v72, v17
	v_add_f16_e32 v46, v29, v46
	;; [unrolled: 1-line block ×4, first 2 shown]
	v_fmamk_f16 v86, v75, 0xb94e, v73
	v_add_f16_e32 v85, v72, v18
	v_add_f16_e32 v46, v34, v46
	v_sub_f16_e32 v77, v31, v32
	v_mul_f16_e32 v72, 0xbbc4, v63
	v_mul_u32_u24_e32 v0, 0x222, v1
	v_add_f16_e32 v85, v85, v19
	v_add_f16_e32 v87, v40, v46
	v_mad_u32_u24 v1, v6, 26, 0
	v_pk_add_f16 v46, v83, v49
	v_add_f16_e32 v49, v84, v86
	v_fmamk_f16 v86, v77, 0xb3a8, v72
	v_add_f16_e32 v87, v42, v87
	v_add_f16_e32 v85, v85, v20
	v_lshl_add_u32 v1, v0, 1, v1
	v_alignbit_b32 v83, v48, v48, 16
	v_add_f16_e32 v48, v49, v86
	v_add_f16_e32 v49, v45, v87
	v_cmp_gt_u32_e64 s1, 3, v6
	v_alignbit_b32 v84, v46, v46, 16
	v_add_f16_e32 v85, v85, v21
	ds_write_b128 v1, v[79:82] offset:2
	ds_write_b64 v1, v[83:84] offset:18
	ds_write_b16 v1, v85
	s_and_saveexec_b32 s0, s1
	s_cbranch_execz .LBB0_16
; %bb.15:
	v_mul_f16_e32 v79, 0xbbc4, v10
	v_mul_f16_e32 v83, 0x3b15, v64
	;; [unrolled: 1-line block ×5, first 2 shown]
	v_fmamk_f16 v84, v78, 0xb3a8, v79
	v_fmamk_f16 v88, v69, 0x3770, v83
	;; [unrolled: 1-line block ×4, first 2 shown]
	v_mul_f16_e32 v90, 0xb3a8, v78
	v_add_f16_e32 v84, v50, v84
	v_fmamk_f16 v98, v75, 0xbb7b, v94
	v_pk_mul_f16 v99, 0xb9fdb5ac, v10 op_sel_hi:[1,0]
	v_pk_mul_f16 v100, 0xb94ebb7b, v78 op_sel_hi:[1,0]
	;; [unrolled: 1-line block ×3, first 2 shown]
	v_add_f16_e32 v84, v84, v88
	v_mul_f16_e32 v80, 0xb770, v78
	v_mul_f16_e32 v88, 0x3770, v69
	;; [unrolled: 1-line block ×3, first 2 shown]
	v_pk_mul_f16 v102, 0x3bf1394e, v69 op_sel_hi:[1,0]
	v_add_f16_e32 v84, v84, v92
	v_pk_fma_f16 v111, 0xbbf1ba95, v78, v106 op_sel_hi:[1,0,1]
	v_pk_mul_f16 v112, 0xbbc4b5ac, v64 op_sel_hi:[1,0]
	v_pk_mul_f16 v113, 0xbbf1ba95, v78 op_sel_hi:[1,0]
	v_bfi_b32 v79, 0xffff, v79, v99
	v_add_f16_e32 v84, v84, v95
	v_bfi_b32 v90, 0xffff, v90, v100
	v_mul_f16_e32 v81, 0xba95, v69
	v_mul_f16_e32 v93, 0xb94e, v74
	v_fmamk_f16 v101, v77, 0x3bf1, v97
	v_add_f16_e32 v84, v84, v98
	v_pk_mul_f16 v98, 0x2fb7b9fd, v64 op_sel_hi:[1,0]
	v_pk_mul_f16 v103, 0x388b3b15, v11 op_sel_hi:[1,0]
	;; [unrolled: 1-line block ×5, first 2 shown]
	v_pk_add_f16 v111, v50, v111 op_sel_hi:[0,1]
	v_pk_fma_f16 v116, 0xb3a8bb7b, v69, v112 op_sel_hi:[1,0,1]
	v_pk_fma_f16 v99, 0xb94ebb7b, v78, v99 op_sel_hi:[1,0,1]
	v_pk_add_f16 v79, v79, v90 neg_lo:[0,1] neg_hi:[0,1]
	v_bfi_b32 v83, 0xffff, v83, v98
	v_bfi_b32 v88, 0xffff, v88, v102
	v_pk_mul_f16 v78, 0x3bf13b7b, v78 op_sel_hi:[1,0]
	v_perm_b32 v67, v67, v106, 0x5040100
	v_perm_b32 v80, v80, v113, 0x5040100
	v_mul_f16_e32 v82, 0xbbf1, v74
	v_mul_f16_e32 v92, 0x3a95, v76
	v_add_f16_e32 v84, v84, v101
	v_pk_mul_f16 v101, 0xbbc42fb7, v65 op_sel_hi:[1,0]
	v_pk_mul_f16 v105, 0x33a8bbf1, v76 op_sel_hi:[1,0]
	;; [unrolled: 1-line block ×4, first 2 shown]
	v_pk_add_f16 v111, v111, v116
	v_pk_fma_f16 v116, 0x3b7bb3a8, v74, v115 op_sel_hi:[1,0,1]
	v_pk_add_f16 v99, v50, v99 op_sel_hi:[0,1]
	v_pk_fma_f16 v98, 0x3bf1394e, v69, v98 op_sel_hi:[1,0,1]
	v_pk_add_f16 v79, v50, v79 op_sel_hi:[0,1]
	v_pk_add_f16 v83, v83, v88 neg_lo:[0,1] neg_hi:[0,1]
	v_bfi_b32 v87, 0xffff, v87, v103
	v_bfi_b32 v88, 0xffff, v93, v104
	v_pk_fma_f16 v10, 0x2fb7b5ac, v10, v78 op_sel_hi:[1,0,1]
	v_pk_mul_f16 v69, 0x33a8b94e, v69 op_sel_hi:[1,0]
	v_pk_add_f16 v67, v67, v80 neg_lo:[0,1] neg_hi:[0,1]
	v_perm_b32 v70, v70, v112, 0x5040100
	v_perm_b32 v78, v81, v114, 0x5040100
	v_mul_f16_e32 v85, 0xbb7b, v76
	v_mul_f16_e32 v96, 0xbb7b, v75
	v_pk_mul_f16 v107, 0x3b15bbc4, v66 op_sel_hi:[1,0]
	v_pk_mul_f16 v108, 0x377033a8, v75 op_sel_hi:[1,0]
	;; [unrolled: 1-line block ×4, first 2 shown]
	v_pk_add_f16 v111, v111, v116
	v_pk_fma_f16 v116, 0x3770394e, v76, v118 op_sel_hi:[1,0,1]
	v_pk_add_f16 v98, v99, v98
	v_pk_fma_f16 v99, 0xba953770, v74, v103 op_sel_hi:[1,0,1]
	v_pk_add_f16 v79, v79, v83
	v_pk_add_f16 v83, v87, v88 neg_lo:[0,1] neg_hi:[0,1]
	v_bfi_b32 v87, 0xffff, v91, v101
	v_bfi_b32 v88, 0xffff, v92, v105
	v_pk_add_f16 v10, v50, v10 op_sel_hi:[0,1]
	v_pk_fma_f16 v64, 0xbbc4b9fd, v64, v69 op_sel_hi:[1,0,1]
	v_pk_mul_f16 v69, 0xbb7bb770, v74 op_sel_hi:[1,0]
	v_pk_add_f16 v50, v50, v67 op_sel_hi:[0,1]
	v_pk_add_f16 v67, v70, v78 neg_lo:[0,1] neg_hi:[0,1]
	v_perm_b32 v68, v68, v115, 0x5040100
	v_perm_b32 v70, v82, v117, 0x5040100
	v_mul_f16_e32 v86, 0xb94e, v75
	v_pk_mul_f16 v121, 0xba953bf1, v75 op_sel_hi:[1,0]
	v_pk_mul_f16 v100, 0xb9fd3b15, v63 op_sel_hi:[1,0]
	v_pk_add_f16 v90, v111, v116
	v_pk_fma_f16 v93, 0xba953bf1, v75, v120 op_sel_hi:[1,0,1]
	v_pk_add_f16 v91, v98, v99
	v_pk_fma_f16 v92, 0x33a8bbf1, v76, v101 op_sel_hi:[1,0,1]
	v_pk_add_f16 v79, v79, v83
	v_pk_add_f16 v83, v87, v88 neg_lo:[0,1] neg_hi:[0,1]
	v_bfi_b32 v87, 0xffff, v94, v107
	v_bfi_b32 v88, 0xffff, v96, v108
	v_pk_add_f16 v10, v10, v64
	v_pk_fma_f16 v11, 0xb5ac3b15, v11, v69 op_sel_hi:[1,0,1]
	v_pk_mul_f16 v64, 0xb7703bf1, v76 op_sel_hi:[1,0]
	v_pk_add_f16 v50, v50, v67
	v_pk_add_f16 v67, v68, v70 neg_lo:[0,1] neg_hi:[0,1]
	v_perm_b32 v68, v71, v118, 0x5040100
	v_perm_b32 v69, v85, v119, 0x5040100
	v_mul_f16_e32 v89, 0xb3a8, v77
	v_mul_f16_e32 v95, 0x3bf1, v77
	v_pk_mul_f16 v109, 0xb5ac388b, v63 op_sel_hi:[1,0]
	v_pk_mul_f16 v110, 0xbb7b3a95, v77 op_sel_hi:[1,0]
	v_pk_add_f16 v90, v90, v93
	v_pk_fma_f16 v93, 0xb94e3770, v77, v100 op_sel_hi:[1,0,1]
	v_pk_add_f16 v91, v91, v92
	v_pk_fma_f16 v92, 0x377033a8, v75, v107 op_sel_hi:[1,0,1]
	v_pk_add_f16 v83, v79, v83
	v_pk_add_f16 v87, v87, v88 neg_lo:[0,1] neg_hi:[0,1]
	v_pk_mul_f16 v88, 0xb94e3770, v77 op_sel_hi:[1,0]
	v_pk_add_f16 v10, v10, v11
	v_pk_fma_f16 v11, 0x3b152fb7, v65, v64 op_sel_hi:[1,0,1]
	v_pk_mul_f16 v64, 0x3a95b3a8, v75 op_sel_hi:[1,0]
	v_pk_add_f16 v50, v50, v67
	v_pk_add_f16 v65, v68, v69 neg_lo:[0,1] neg_hi:[0,1]
	v_perm_b32 v67, v73, v120, 0x5040100
	v_perm_b32 v68, v86, v121, 0x5040100
	v_pk_add_f16 v79, v90, v93
	v_pk_add_f16 v90, v91, v92
	;; [unrolled: 1-line block ×3, first 2 shown]
	v_bfi_b32 v87, 0xffff, v97, v109
	v_bfi_b32 v92, 0xffff, v95, v110
	v_pk_add_f16 v10, v10, v11
	v_pk_fma_f16 v11, 0x388bbbc4, v66, v64 op_sel_hi:[1,0,1]
	v_pk_mul_f16 v64, 0x394eba95, v77 op_sel_hi:[1,0]
	v_pk_add_f16 v50, v50, v65
	v_pk_add_f16 v65, v67, v68 neg_lo:[0,1] neg_hi:[0,1]
	v_perm_b32 v66, v72, v100, 0x5040100
	v_perm_b32 v67, v89, v88, 0x5040100
	v_pk_fma_f16 v91, 0xbb7b3a95, v77, v109 op_sel_hi:[1,0,1]
	v_pk_add_f16 v68, v87, v92 neg_lo:[0,1] neg_hi:[0,1]
	v_pk_add_f16 v10, v10, v11
	v_pk_fma_f16 v11, 0xb9fd388b, v63, v64 op_sel_hi:[1,0,1]
	v_pk_add_f16 v50, v50, v65
	v_pk_add_f16 v65, v66, v67 neg_lo:[0,1] neg_hi:[0,1]
	v_pk_add_f16 v80, v90, v91
	v_perm_b32 v78, v48, v49, 0x5040100
	v_pk_add_f16 v63, v83, v68
	v_pk_add_f16 v64, v10, v11
	;; [unrolled: 1-line block ×3, first 2 shown]
	ds_write_b96 v1, v[78:80] offset:1014
	ds_write_b16 v1, v84 offset:1026
	ds_write_b96 v1, v[63:65] offset:1028
.LBB0_16:
	s_or_b32 exec_lo, exec_lo, s0
	v_lshlrev_b32_e32 v50, 1, v0
	v_lshlrev_b32_e32 v0, 1, v6
	s_waitcnt lgkmcnt(0)
	s_barrier
	buffer_gl0_inv
	v_cmp_gt_u32_e64 s0, 26, v6
	v_add3_u32 v10, 0, v50, v0
	v_add3_u32 v11, 0, v0, v50
	ds_read_u16 v63, v10
	ds_read_u16 v64, v11 offset:78
	ds_read_u16 v65, v11 offset:156
	;; [unrolled: 1-line block ×11, first 2 shown]
	s_and_saveexec_b32 s6, s0
	s_cbranch_execz .LBB0_18
; %bb.17:
	ds_read_u16 v46, v11 offset:312
	ds_read_u16 v49, v11 offset:676
	;; [unrolled: 1-line block ×3, first 2 shown]
.LBB0_18:
	s_or_b32 exec_lo, exec_lo, s6
	v_add_f16_e32 v0, v47, v61
	v_sub_f16_e32 v2, v2, v21
	v_add_f16_e32 v61, v61, v51
	v_sub_f16_e32 v3, v3, v20
	v_sub_f16_e32 v19, v7, v19
	v_add_f16_e32 v0, v0, v62
	v_pk_mul_f16 v7, 0xba95b770, v2 op_sel_hi:[1,0]
	v_add_f16_e32 v21, v62, v52
	v_add_f16_e32 v20, v60, v53
	v_sub_f16_e32 v14, v14, v15
	v_add_f16_e32 v0, v0, v60
	v_add_f16_e32 v60, v57, v56
	v_pk_mul_f16 v15, 0xbb7bba95, v3 op_sel_hi:[1,0]
	v_sub_f16_e32 v12, v12, v18
	v_sub_f16_e32 v13, v13, v17
	v_add_f16_e32 v0, v0, v59
	v_pk_mul_f16 v17, 0xb3a8bbf1, v19 op_sel_hi:[1,0]
	v_pk_fma_f16 v79, 0xb5ac388b, v21, v15 op_sel_hi:[1,0,1] neg_lo:[0,0,1] neg_hi:[0,0,1]
	v_add_f16_e32 v62, v59, v54
	v_add_f16_e32 v18, v58, v55
	;; [unrolled: 1-line block ×3, first 2 shown]
	v_pk_mul_f16 v59, 0x394ebb7b, v12 op_sel_hi:[1,0]
	v_pk_fma_f16 v80, 0xbbc42fb7, v20, v17 op_sel_hi:[1,0,1] neg_lo:[0,0,1] neg_hi:[0,0,1]
	v_pk_fma_f16 v15, 0xb5ac388b, v21, v15 op_sel_hi:[1,0,1]
	v_pk_mul_f16 v58, 0x3bf1b94e, v13 op_sel_hi:[1,0]
	v_add_f16_e32 v0, v0, v57
	v_pk_fma_f16 v57, 0x388b3b15, v61, v7 op_sel_hi:[1,0,1] neg_lo:[0,0,1] neg_hi:[0,0,1]
	v_pk_fma_f16 v7, 0x388b3b15, v61, v7 op_sel_hi:[1,0,1]
	v_pk_mul_f16 v76, 0xbb7bbbf1, v2 op_sel_hi:[1,0]
	v_pk_fma_f16 v17, 0xbbc42fb7, v20, v17 op_sel_hi:[1,0,1]
	v_add_f16_e32 v0, v0, v56
	v_pk_add_f16 v56, v57, v47 op_sel_hi:[1,0]
	v_pk_add_f16 v7, v7, v47 op_sel_hi:[1,0]
	v_pk_fma_f16 v57, 0xb9fdb5ac, v62, v59 op_sel_hi:[1,0,1] neg_lo:[0,0,1] neg_hi:[0,0,1]
	v_pk_mul_f16 v75, 0x3770b3a8, v14 op_sel_hi:[1,0]
	v_add_f16_e32 v0, v0, v55
	v_pk_add_f16 v55, v79, v56
	v_pk_add_f16 v7, v15, v7
	v_pk_mul_f16 v77, 0x394eb3a8, v3 op_sel_hi:[1,0]
	v_pk_fma_f16 v56, 0x2fb7b9fd, v18, v58 op_sel_hi:[1,0,1] neg_lo:[0,0,1] neg_hi:[0,0,1]
	v_add_f16_e32 v0, v0, v54
	v_pk_add_f16 v54, v80, v55
	v_pk_fma_f16 v55, 0xb9fdb5ac, v62, v59 op_sel_hi:[1,0,1]
	v_pk_add_f16 v7, v17, v7
	v_pk_mul_f16 v78, 0x37703b7b, v19 op_sel_hi:[1,0]
	v_add_f16_e32 v0, v0, v53
	v_pk_add_f16 v53, v57, v54
	v_pk_fma_f16 v54, 0xb5ac2fb7, v61, v76 op_sel_hi:[1,0,1] neg_lo:[0,0,1] neg_hi:[0,0,1]
	v_pk_fma_f16 v15, 0x3b15bbc4, v60, v75 op_sel_hi:[1,0,1] neg_lo:[0,0,1] neg_hi:[0,0,1]
	v_pk_fma_f16 v17, 0x2fb7b9fd, v18, v58 op_sel_hi:[1,0,1]
	v_add_f16_e32 v0, v0, v52
	v_pk_add_f16 v52, v56, v53
	v_pk_add_f16 v7, v55, v7
	v_pk_fma_f16 v53, 0xb9fdbbc4, v21, v77 op_sel_hi:[1,0,1] neg_lo:[0,0,1] neg_hi:[0,0,1]
	v_pk_add_f16 v54, v54, v47 op_sel_hi:[1,0]
	v_add_f16_e32 v55, v0, v51
	v_pk_add_f16 v51, v15, v52
	v_pk_add_f16 v0, v17, v7
	v_pk_fma_f16 v7, 0xb5ac2fb7, v61, v76 op_sel_hi:[1,0,1]
	v_pk_add_f16 v15, v53, v54
	v_pk_fma_f16 v17, 0x3b15b5ac, v20, v78 op_sel_hi:[1,0,1] neg_lo:[0,0,1] neg_hi:[0,0,1]
	v_pk_mul_f16 v52, 0xbbf13770, v12 op_sel_hi:[1,0]
	v_pk_fma_f16 v53, 0x3b15bbc4, v60, v75 op_sel_hi:[1,0,1]
	v_pk_add_f16 v54, v7, v47 op_sel_hi:[1,0]
	v_pk_fma_f16 v56, 0xb9fdbbc4, v21, v77 op_sel_hi:[1,0,1]
	v_pk_add_f16 v15, v17, v15
	v_pk_fma_f16 v17, 0x2fb73b15, v62, v52 op_sel_hi:[1,0,1] neg_lo:[0,0,1] neg_hi:[0,0,1]
	v_pk_mul_f16 v57, 0x33a8ba95, v13 op_sel_hi:[1,0]
	v_pk_add_f16 v7, v53, v0
	v_pk_add_f16 v0, v56, v54
	v_pk_fma_f16 v53, 0x3b15b5ac, v20, v78 op_sel_hi:[1,0,1]
	v_pk_add_f16 v15, v17, v15
	v_pk_fma_f16 v17, 0xbbc4388b, v18, v57 op_sel_hi:[1,0,1] neg_lo:[0,0,1] neg_hi:[0,0,1]
	v_pk_mul_f16 v54, 0x3a95b94e, v14 op_sel_hi:[1,0]
	v_pk_mul_f16 v2, 0xb3a8b94e, v2 op_sel_hi:[1,0]
	v_pk_add_f16 v0, v53, v0
	v_pk_fma_f16 v52, 0x2fb73b15, v62, v52 op_sel_hi:[1,0,1]
	v_pk_add_f16 v15, v17, v15
	v_pk_fma_f16 v17, 0x388bb9fd, v60, v54 op_sel_hi:[1,0,1] neg_lo:[0,0,1] neg_hi:[0,0,1]
	v_pk_fma_f16 v53, 0xbbc4b9fd, v61, v2 op_sel_hi:[1,0,1] neg_lo:[0,0,1] neg_hi:[0,0,1]
	v_pk_mul_f16 v3, 0x37703bf1, v3 op_sel_hi:[1,0]
	v_pk_add_f16 v0, v52, v0
	v_pk_mul_f16 v19, 0xb94eba95, v19 op_sel_hi:[1,0]
	v_pk_add_f16 v52, v17, v15
	v_pk_add_f16 v15, v53, v47 op_sel_hi:[1,0]
	v_pk_fma_f16 v17, 0x3b152fb7, v21, v3 op_sel_hi:[1,0,1] neg_lo:[0,0,1] neg_hi:[0,0,1]
	v_pk_fma_f16 v53, 0x388bb9fd, v60, v54 op_sel_hi:[1,0,1]
	v_pk_fma_f16 v2, 0xbbc4b9fd, v61, v2 op_sel_hi:[1,0,1]
	v_pk_mul_f16 v12, 0x3a9533a8, v12 op_sel_hi:[1,0]
	v_add_f16_e32 v54, v16, v44
	v_pk_add_f16 v15, v17, v15
	v_pk_fma_f16 v17, 0xb9fd388b, v20, v19 op_sel_hi:[1,0,1] neg_lo:[0,0,1] neg_hi:[0,0,1]
	v_pk_add_f16 v2, v2, v47 op_sel_hi:[1,0]
	v_pk_fma_f16 v3, 0x3b152fb7, v21, v3 op_sel_hi:[1,0,1]
	v_add_f16_e32 v21, v54, v43
	v_pk_mul_f16 v13, 0xbb7b3770, v13 op_sel_hi:[1,0]
	v_pk_add_f16 v15, v17, v15
	v_pk_fma_f16 v17, 0x388bbbc4, v62, v12 op_sel_hi:[1,0,1] neg_lo:[0,0,1] neg_hi:[0,0,1]
	v_pk_add_f16 v2, v3, v2
	v_pk_fma_f16 v3, 0xb9fd388b, v20, v19 op_sel_hi:[1,0,1]
	v_pk_fma_f16 v19, 0xb5ac3b15, v18, v13 op_sel_hi:[1,0,1] neg_lo:[0,0,1] neg_hi:[0,0,1]
	v_sub_f16_e32 v20, v33, v45
	v_pk_add_f16 v15, v17, v15
	v_add_f16_e32 v17, v21, v41
	v_pk_add_f16 v2, v3, v2
	v_pk_fma_f16 v3, 0x388bbbc4, v62, v12 op_sel_hi:[1,0,1]
	v_add_f16_e32 v33, v44, v28
	v_pk_add_f16 v15, v19, v15
	v_add_f16_e32 v12, v17, v39
	v_pk_mul_f16 v19, 0xba95b770, v20 op_sel_hi:[1,0]
	v_pk_add_f16 v54, v3, v2
	v_sub_f16_e32 v27, v27, v42
	v_add_f16_e32 v42, v43, v30
	v_add_f16_e32 v2, v12, v36
	v_pk_fma_f16 v12, 0xb5ac3b15, v18, v13 op_sel_hi:[1,0,1]
	v_pk_fma_f16 v13, 0x388b3b15, v33, v19 op_sel_hi:[1,0,1] neg_lo:[0,0,1] neg_hi:[0,0,1]
	v_pk_mul_f16 v3, 0xbb7bba95, v27 op_sel_hi:[1,0]
	v_sub_f16_e32 v40, v26, v40
	v_add_f16_e32 v2, v2, v31
	v_pk_mul_f16 v47, 0x3bf1bb7b, v14 op_sel_hi:[1,0]
	v_add_f16_e32 v41, v41, v35
	v_pk_add_f16 v14, v16, v13 op_sel_hi:[0,1]
	v_pk_fma_f16 v17, 0xb5ac388b, v42, v3 op_sel_hi:[1,0,1] neg_lo:[0,0,1] neg_hi:[0,0,1]
	v_add_f16_e32 v2, v2, v32
	v_pk_mul_f16 v13, 0xb3a8bbf1, v40 op_sel_hi:[1,0]
	v_sub_f16_e32 v26, v25, v34
	v_pk_fma_f16 v56, 0xbbc4388b, v18, v57 op_sel_hi:[1,0,1]
	v_add_f16_e32 v34, v39, v38
	v_add_f16_e32 v2, v37, v2
	v_pk_add_f16 v17, v14, v17
	v_pk_fma_f16 v18, 0xbbc42fb7, v41, v13 op_sel_hi:[1,0,1] neg_lo:[0,0,1] neg_hi:[0,0,1]
	v_pk_mul_f16 v14, 0x394ebb7b, v26 op_sel_hi:[1,0]
	v_sub_f16_e32 v24, v24, v29
	v_add_f16_e32 v2, v38, v2
	v_add_f16_e32 v25, v36, v37
	v_pk_add_f16 v29, v17, v18
	v_pk_fma_f16 v36, 0xb9fdb5ac, v34, v14 op_sel_hi:[1,0,1] neg_lo:[0,0,1] neg_hi:[0,0,1]
	v_pk_mul_f16 v17, 0x3bf1b94e, v24 op_sel_hi:[1,0]
	v_sub_f16_e32 v18, v22, v23
	v_add_f16_e32 v22, v35, v2
	v_add_f16_e32 v21, v31, v32
	v_pk_add_f16 v23, v29, v36
	v_pk_fma_f16 v29, 0x2fb7b9fd, v25, v17 op_sel_hi:[1,0,1] neg_lo:[0,0,1] neg_hi:[0,0,1]
	v_pk_mul_f16 v2, 0x3770b3a8, v18 op_sel_hi:[1,0]
	v_pk_add_f16 v12, v12, v54
	v_pk_fma_f16 v31, 0x2fb7b5ac, v60, v47 op_sel_hi:[1,0,1]
	v_pk_add_f16 v0, v56, v0
	v_pk_fma_f16 v45, 0x2fb7b5ac, v60, v47 op_sel_hi:[1,0,1] neg_lo:[0,0,1] neg_hi:[0,0,1]
	v_add_f16_e32 v22, v30, v22
	v_pk_add_f16 v23, v23, v29
	v_pk_fma_f16 v29, 0x3b15bbc4, v21, v2 op_sel_hi:[1,0,1] neg_lo:[0,0,1] neg_hi:[0,0,1]
	v_pk_add_f16 v31, v31, v12
	v_pk_add_f16 v30, v53, v0
	v_pk_add_f16 v53, v45, v15
	v_add_f16_e32 v12, v28, v22
	v_pk_add_f16 v0, v23, v29
	v_add_nc_u32_e32 v15, 39, v6
	v_alignbit_b32 v54, v31, v31, 16
	v_alignbit_b32 v22, v30, v30, 16
	;; [unrolled: 1-line block ×3, first 2 shown]
	s_waitcnt lgkmcnt(0)
	s_barrier
	buffer_gl0_inv
	ds_write_b16 v1, v55
	ds_write_b128 v1, v[51:54] offset:2
	ds_write_b64 v1, v[22:23] offset:18
	s_and_saveexec_b32 s6, s1
	s_cbranch_execz .LBB0_20
; %bb.19:
	v_pk_mul_f16 v22, 0x388b3b15, v33 op_sel_hi:[1,0]
	v_pack_b32_f16 v20, v20, v20
	v_perm_b32 v16, v16, v16, 0x5040100
	v_pk_mul_f16 v28, 0xb5ac388b, v42 op_sel_hi:[1,0]
	v_pack_b32_f16 v1, v33, v33
	v_pk_add_f16 v19, v22, v19
	v_pack_b32_f16 v27, v27, v27
	v_pk_mul_f16 v30, 0xbbc42fb7, v41 op_sel_hi:[1,0]
	v_pack_b32_f16 v32, v34, v34
	v_pk_mul_f16 v33, 0xb9fdb5ac, v34 op_sel_hi:[1,0]
	v_pk_mul_f16 v34, 0xbb7bbbf1, v20
	v_pk_add_f16 v19, v16, v19
	v_pk_add_f16 v3, v28, v3
	v_pack_b32_f16 v23, v42, v42
	v_pack_b32_f16 v31, v40, v40
	v_pk_fma_f16 v28, 0xb5ac2fb7, v1, v34 neg_lo:[0,0,1] neg_hi:[0,0,1]
	v_pk_mul_f16 v35, 0x394eb3a8, v27
	v_pk_add_f16 v3, v19, v3
	v_pk_add_f16 v13, v30, v13
	v_pack_b32_f16 v29, v41, v41
	v_pack_b32_f16 v22, v26, v26
	;; [unrolled: 1-line block ×3, first 2 shown]
	v_pk_mul_f16 v25, 0x2fb7b9fd, v25 op_sel_hi:[1,0]
	v_pk_add_f16 v19, v16, v28
	v_pk_fma_f16 v28, 0xb9fdbbc4, v23, v35 neg_lo:[0,0,1] neg_hi:[0,0,1]
	v_pk_mul_f16 v30, 0x37703b7b, v31
	v_pk_add_f16 v3, v3, v13
	v_pk_add_f16 v13, v33, v14
	v_pack_b32_f16 v24, v24, v24
	v_pack_b32_f16 v36, v21, v21
	v_pk_mul_f16 v21, 0x3b15bbc4, v21 op_sel_hi:[1,0]
	v_pk_add_f16 v14, v19, v28
	v_pk_fma_f16 v19, 0x3b15b5ac, v29, v30 neg_lo:[0,0,1] neg_hi:[0,0,1]
	v_pk_mul_f16 v28, 0xbbf13770, v22
	v_pk_add_f16 v3, v3, v13
	v_pk_add_f16 v13, v25, v17
	v_pk_fma_f16 v25, 0xb5ac2fb7, v1, v34
	v_pk_add_f16 v14, v14, v19
	v_pk_fma_f16 v17, 0x2fb73b15, v32, v28 neg_lo:[0,0,1] neg_hi:[0,0,1]
	v_pk_mul_f16 v19, 0x33a8ba95, v24
	v_pk_add_f16 v3, v3, v13
	v_pk_add_f16 v2, v21, v2
	v_pk_fma_f16 v21, 0xb9fdbbc4, v23, v35
	v_pk_add_f16 v13, v14, v17
	v_pk_fma_f16 v14, 0xbbc4388b, v26, v19 neg_lo:[0,0,1] neg_hi:[0,0,1]
	v_pk_add_f16 v17, v16, v25
	v_pk_add_f16 v25, v3, v2
	v_pk_mul_f16 v2, 0xb3a8b94e, v20
	v_pk_mul_f16 v22, 0x3a9533a8, v22
	v_pk_add_f16 v3, v13, v14
	v_pk_add_f16 v14, v17, v21
	v_pk_fma_f16 v17, 0x3b15b5ac, v29, v30
	v_pk_fma_f16 v20, 0xbbc4b9fd, v1, v2
	v_pk_mul_f16 v21, 0x37703bf1, v27
	v_pk_fma_f16 v1, 0xbbc4b9fd, v1, v2 neg_lo:[0,0,1] neg_hi:[0,0,1]
	v_pack_b32_f16 v18, v18, v18
	v_pk_add_f16 v2, v14, v17
	v_pk_add_f16 v14, v16, v20
	v_pk_fma_f16 v17, 0x3b152fb7, v23, v21
	v_pk_mul_f16 v20, 0xb94eba95, v31
	v_pk_add_f16 v1, v16, v1
	v_pk_fma_f16 v16, 0x3b152fb7, v23, v21 neg_lo:[0,0,1] neg_hi:[0,0,1]
	v_pk_fma_f16 v21, 0x2fb73b15, v32, v28
	v_pk_add_f16 v14, v14, v17
	v_pk_fma_f16 v17, 0xb9fd388b, v29, v20
	v_pk_mul_f16 v13, 0x3a95b94e, v18
	v_pk_add_f16 v1, v1, v16
	v_pk_fma_f16 v16, 0xb9fd388b, v29, v20 neg_lo:[0,0,1] neg_hi:[0,0,1]
	v_pk_mul_f16 v20, 0xbb7b3770, v24
	v_pk_add_f16 v14, v14, v17
	v_pk_fma_f16 v17, 0x388bbbc4, v32, v22
	v_pk_mul_f16 v18, 0x3bf1bb7b, v18
	v_pk_add_f16 v1, v1, v16
	v_pk_fma_f16 v16, 0x388bbbc4, v32, v22 neg_lo:[0,0,1] neg_hi:[0,0,1]
	v_pk_add_f16 v2, v2, v21
	v_pk_add_f16 v14, v14, v17
	v_pk_fma_f16 v17, 0xb5ac3b15, v26, v20
	v_pk_fma_f16 v19, 0xbbc4388b, v26, v19
	v_pk_add_f16 v1, v1, v16
	v_pk_fma_f16 v16, 0xb5ac3b15, v26, v20 neg_lo:[0,0,1] neg_hi:[0,0,1]
	v_pk_fma_f16 v27, 0x388bb9fd, v36, v13 neg_lo:[0,0,1] neg_hi:[0,0,1]
	v_pk_add_f16 v14, v14, v17
	v_pk_fma_f16 v17, 0x2fb7b5ac, v36, v18
	v_pk_add_f16 v2, v2, v19
	v_pk_fma_f16 v13, 0x388bb9fd, v36, v13
	v_pk_add_f16 v16, v1, v16
	v_pk_fma_f16 v18, 0x2fb7b5ac, v36, v18 neg_lo:[0,0,1] neg_hi:[0,0,1]
	v_mul_u32_u24_e32 v19, 26, v15
	v_pk_add_f16 v14, v14, v17
	v_pk_add_f16 v13, v2, v13
	;; [unrolled: 1-line block ×4, first 2 shown]
	v_add3_u32 v16, 0, v19, v50
	v_alignbit_b32 v3, v14, v14, 16
	v_alignbit_b32 v13, v13, v13, 16
	;; [unrolled: 1-line block ×3, first 2 shown]
	ds_write_b16 v16, v12
	ds_write_b128 v16, v[0:3] offset:2
	ds_write_b64 v16, v[13:14] offset:18
.LBB0_20:
	s_or_b32 exec_lo, exec_lo, s6
	s_waitcnt lgkmcnt(0)
	s_barrier
	buffer_gl0_inv
	ds_read_u16 v2, v10
	ds_read_u16 v3, v11 offset:78
	ds_read_u16 v13, v11 offset:156
	;; [unrolled: 1-line block ×11, first 2 shown]
	s_and_saveexec_b32 s1, s0
	s_cbranch_execz .LBB0_22
; %bb.21:
	ds_read_u16 v7, v11 offset:312
	ds_read_u16 v12, v11 offset:676
	;; [unrolled: 1-line block ×3, first 2 shown]
.LBB0_22:
	s_or_b32 exec_lo, exec_lo, s1
	v_add_nc_u16 v25, v6, 0x4e
	v_and_b32_e32 v23, 0xff, v6
	v_and_b32_e32 v24, 0xff, v15
	v_add_nc_u16 v26, v6, 0x75
	v_add_nc_u16 v30, v6, 0x9c
	v_and_b32_e32 v29, 0xff, v25
	v_mul_lo_u16 v23, 0x4f, v23
	v_mul_lo_u16 v24, 0x4f, v24
	v_and_b32_e32 v31, 0xff, v26
	v_and_b32_e32 v33, 0xff, v30
	v_mul_lo_u16 v29, 0x4f, v29
	v_lshrrev_b16 v23, 10, v23
	v_lshrrev_b16 v24, 10, v24
	v_mul_lo_u16 v31, 0x4f, v31
	v_mul_lo_u16 v34, 0x4f, v33
	v_lshrrev_b16 v29, 10, v29
	v_mul_lo_u16 v28, v23, 13
	v_mul_lo_u16 v32, v24, 13
	v_lshrrev_b16 v31, 10, v31
	v_lshrrev_b16 v37, 10, v34
	v_mul_lo_u16 v36, v29, 13
	v_mov_b32_e32 v27, 3
	v_sub_nc_u16 v28, v6, v28
	v_sub_nc_u16 v15, v15, v32
	v_mul_lo_u16 v38, v31, 13
	v_sub_nc_u16 v36, v25, v36
	v_mul_lo_u16 v25, v37, 13
	v_lshlrev_b32_sdwa v32, v27, v28 dst_sel:DWORD dst_unused:UNUSED_PAD src0_sel:DWORD src1_sel:BYTE_0
	v_lshlrev_b32_sdwa v35, v27, v15 dst_sel:DWORD dst_unused:UNUSED_PAD src0_sel:DWORD src1_sel:BYTE_0
	v_sub_nc_u16 v38, v26, v38
	v_lshlrev_b32_sdwa v39, v27, v36 dst_sel:DWORD dst_unused:UNUSED_PAD src0_sel:DWORD src1_sel:BYTE_0
	v_sub_nc_u16 v26, v30, v25
	s_clause 0x1
	global_load_dwordx2 v[32:33], v32, s[12:13]
	global_load_dwordx2 v[34:35], v35, s[12:13]
	v_lshlrev_b32_sdwa v25, v27, v38 dst_sel:DWORD dst_unused:UNUSED_PAD src0_sel:DWORD src1_sel:BYTE_0
	global_load_dwordx2 v[43:44], v39, s[12:13]
	v_lshlrev_b32_sdwa v27, v27, v26 dst_sel:DWORD dst_unused:UNUSED_PAD src0_sel:DWORD src1_sel:BYTE_0
	v_and_b32_e32 v23, 0xffff, v23
	v_and_b32_e32 v24, 0xffff, v24
	s_clause 0x1
	global_load_dwordx2 v[51:52], v25, s[12:13]
	global_load_dwordx2 v[53:54], v27, s[12:13]
	v_mov_b32_e32 v25, 1
	v_and_b32_e32 v30, 0xffff, v31
	v_mad_u32_u24 v23, 0x4e, v23, 0
	v_mad_u32_u24 v24, 0x4e, v24, 0
	v_and_b32_e32 v29, 0xffff, v29
	v_lshlrev_b32_sdwa v28, v25, v28 dst_sel:DWORD dst_unused:UNUSED_PAD src0_sel:DWORD src1_sel:BYTE_0
	v_lshlrev_b32_sdwa v15, v25, v15 dst_sel:DWORD dst_unused:UNUSED_PAD src0_sel:DWORD src1_sel:BYTE_0
	v_mad_u32_u24 v39, 0x4e, v30, 0
	v_lshlrev_b32_sdwa v30, v25, v36 dst_sel:DWORD dst_unused:UNUSED_PAD src0_sel:DWORD src1_sel:BYTE_0
	v_lshlrev_b32_sdwa v36, v25, v38 dst_sel:DWORD dst_unused:UNUSED_PAD src0_sel:DWORD src1_sel:BYTE_0
	v_and_b32_e32 v27, 0xffff, v37
	v_mad_u32_u24 v37, 0x4e, v29, 0
	v_add3_u32 v31, v23, v28, v50
	v_add3_u32 v29, v24, v15, v50
	v_add3_u32 v28, v39, v36, v50
	s_waitcnt vmcnt(0) lgkmcnt(0)
	v_add3_u32 v30, v37, v30, v50
	s_barrier
	buffer_gl0_inv
	v_mul_f16_sdwa v38, v21, v32 dst_sel:DWORD dst_unused:UNUSED_PAD src0_sel:DWORD src1_sel:WORD_1
	v_mul_f16_sdwa v15, v73, v32 dst_sel:DWORD dst_unused:UNUSED_PAD src0_sel:DWORD src1_sel:WORD_1
	;; [unrolled: 1-line block ×8, first 2 shown]
	v_fmac_f16_e32 v38, v73, v32
	v_fma_f16 v42, v21, v32, -v15
	v_fmac_f16_e32 v39, v74, v33
	v_fma_f16 v37, v22, v33, -v36
	;; [unrolled: 2-line block ×4, first 2 shown]
	v_mul_f16_sdwa v20, v16, v43 dst_sel:DWORD dst_unused:UNUSED_PAD src0_sel:DWORD src1_sel:WORD_1
	v_mul_f16_sdwa v34, v68, v43 dst_sel:DWORD dst_unused:UNUSED_PAD src0_sel:DWORD src1_sel:WORD_1
	;; [unrolled: 1-line block ×12, first 2 shown]
	v_fmac_f16_e32 v20, v68, v43
	v_fma_f16 v41, v16, v43, -v34
	v_fmac_f16_e32 v21, v70, v44
	v_fma_f16 v16, v18, v44, -v35
	v_fmac_f16_e32 v15, v67, v51
	v_fmac_f16_e32 v19, v69, v52
	v_fma_f16 v35, v12, v53, -v47
	v_add_f16_e32 v12, v38, v39
	v_add_f16_e32 v43, v23, v24
	v_fma_f16 v1, v1, v51, -v36
	v_fma_f16 v36, v17, v52, -v45
	v_fmac_f16_e32 v33, v48, v54
	v_fma_f16 v34, v0, v54, -v55
	v_add_f16_e32 v0, v63, v38
	v_sub_f16_e32 v17, v42, v37
	v_add_f16_e32 v18, v64, v23
	v_fmac_f16_e32 v63, -0.5, v12
	v_fmac_f16_e32 v64, -0.5, v43
	v_add_f16_e32 v43, v20, v21
	v_add_f16_e32 v48, v15, v19
	v_sub_f16_e32 v44, v40, v22
	v_fmac_f16_e32 v32, v49, v53
	v_add_f16_e32 v0, v0, v39
	v_add_f16_e32 v12, v18, v24
	;; [unrolled: 1-line block ×3, first 2 shown]
	v_sub_f16_e32 v45, v41, v16
	v_add_f16_e32 v47, v66, v15
	v_sub_f16_e32 v49, v1, v36
	v_fmamk_f16 v51, v17, 0xbaee, v63
	v_fmac_f16_e32 v65, -0.5, v43
	v_fmac_f16_e32 v66, -0.5, v48
	v_fmac_f16_e32 v63, 0x3aee, v17
	v_fmamk_f16 v17, v44, 0xbaee, v64
	v_fmac_f16_e32 v64, 0x3aee, v44
	v_add_f16_e32 v18, v18, v21
	v_add_f16_e32 v43, v47, v19
	ds_write_b16 v31, v0
	v_fmamk_f16 v0, v45, 0xbaee, v65
	v_fmac_f16_e32 v65, 0x3aee, v45
	v_fmamk_f16 v44, v49, 0xbaee, v66
	v_fmac_f16_e32 v66, 0x3aee, v49
	ds_write_b16 v31, v51 offset:26
	ds_write_b16 v31, v63 offset:52
	ds_write_b16 v29, v12
	ds_write_b16 v29, v17 offset:26
	ds_write_b16 v29, v64 offset:52
	ds_write_b16 v30, v18
	;; [unrolled: 3-line block ×3, first 2 shown]
	ds_write_b16 v28, v44 offset:26
	ds_write_b16 v28, v66 offset:52
	s_and_saveexec_b32 s1, s0
	s_cbranch_execz .LBB0_24
; %bb.23:
	v_add_f16_e32 v0, v32, v33
	v_add_f16_e32 v17, v46, v32
	v_mad_u32_u24 v18, 0x4e, v27, 0
	v_lshlrev_b32_sdwa v25, v25, v26 dst_sel:DWORD dst_unused:UNUSED_PAD src0_sel:DWORD src1_sel:BYTE_0
	v_sub_f16_e32 v12, v35, v34
	v_fma_f16 v0, -0.5, v0, v46
	v_add_f16_e32 v17, v17, v33
	v_add3_u32 v18, v18, v25, v50
	v_fmamk_f16 v25, v12, 0x3aee, v0
	v_fmac_f16_e32 v0, 0xbaee, v12
	ds_write_b16 v18, v17
	ds_write_b16 v18, v0 offset:26
	ds_write_b16 v18, v25 offset:52
.LBB0_24:
	s_or_b32 exec_lo, exec_lo, s1
	v_add_f16_e32 v0, v42, v37
	v_add_f16_e32 v12, v2, v42
	v_sub_f16_e32 v17, v38, v39
	v_add_f16_e32 v18, v40, v22
	v_add_f16_e32 v25, v41, v16
	v_fmac_f16_e32 v2, -0.5, v0
	v_add_f16_e32 v0, v3, v40
	v_add_f16_e32 v37, v12, v37
	v_fmac_f16_e32 v3, -0.5, v18
	v_sub_f16_e32 v12, v23, v24
	v_fmamk_f16 v38, v17, 0x3aee, v2
	v_fmac_f16_e32 v2, 0xbaee, v17
	v_add_f16_e32 v39, v0, v22
	v_add_f16_e32 v0, v13, v41
	;; [unrolled: 1-line block ×3, first 2 shown]
	v_fmac_f16_e32 v13, -0.5, v25
	v_sub_f16_e32 v40, v20, v21
	v_fmamk_f16 v41, v12, 0x3aee, v3
	v_fmac_f16_e32 v3, 0xbaee, v12
	v_add_f16_e32 v42, v0, v16
	v_add_f16_e32 v44, v14, v1
	v_fmac_f16_e32 v14, -0.5, v17
	v_sub_f16_e32 v45, v15, v19
	s_waitcnt lgkmcnt(0)
	s_barrier
	buffer_gl0_inv
	ds_read_u16 v0, v10
	ds_read_u16 v16, v11 offset:624
	ds_read_u16 v12, v11 offset:546
	;; [unrolled: 1-line block ×13, first 2 shown]
	v_fmamk_f16 v43, v40, 0x3aee, v13
	v_fmac_f16_e32 v13, 0xbaee, v40
	v_add_f16_e32 v36, v44, v36
	v_fmamk_f16 v40, v45, 0x3aee, v14
	v_fmac_f16_e32 v14, 0xbaee, v45
	s_waitcnt lgkmcnt(0)
	s_barrier
	buffer_gl0_inv
	ds_write_b16 v31, v37
	ds_write_b16 v31, v38 offset:26
	ds_write_b16 v31, v2 offset:52
	ds_write_b16 v29, v39
	ds_write_b16 v29, v41 offset:26
	ds_write_b16 v29, v3 offset:52
	;; [unrolled: 3-line block ×4, first 2 shown]
	s_and_saveexec_b32 s1, s0
	s_cbranch_execz .LBB0_26
; %bb.25:
	v_mov_b32_e32 v2, 1
	v_add_f16_e32 v3, v35, v34
	v_add_f16_e32 v13, v7, v35
	v_mad_u32_u24 v27, 0x4e, v27, 0
	v_sub_f16_e32 v14, v32, v33
	v_lshlrev_b32_sdwa v2, v2, v26 dst_sel:DWORD dst_unused:UNUSED_PAD src0_sel:DWORD src1_sel:BYTE_0
	v_fmac_f16_e32 v7, -0.5, v3
	v_add_f16_e32 v3, v13, v34
	v_add3_u32 v2, v27, v2, v50
	v_fmamk_f16 v13, v14, 0x3aee, v7
	v_fmamk_f16 v7, v14, 0xbaee, v7
	ds_write_b16 v2, v3
	ds_write_b16 v2, v13 offset:26
	ds_write_b16 v2, v7 offset:52
.LBB0_26:
	s_or_b32 exec_lo, exec_lo, s1
	v_mul_u32_u24_e32 v2, 6, v6
	s_waitcnt lgkmcnt(0)
	s_barrier
	buffer_gl0_inv
	v_lshlrev_b32_e32 v2, 2, v2
	s_clause 0x1
	global_load_dwordx4 v[26:29], v2, s[12:13] offset:104
	global_load_dwordx2 v[2:3], v2, s[12:13] offset:120
	ds_read_u16 v7, v11 offset:156
	ds_read_u16 v13, v11 offset:312
	ds_read_u16 v14, v11 offset:468
	ds_read_u16 v30, v11 offset:624
	ds_read_u16 v31, v10
	ds_read_u16 v32, v11 offset:780
	ds_read_u16 v33, v11 offset:936
	;; [unrolled: 1-line block ×9, first 2 shown]
	s_waitcnt vmcnt(0) lgkmcnt(0)
	s_barrier
	buffer_gl0_inv
	v_mul_f16_sdwa v41, v7, v26 dst_sel:DWORD dst_unused:UNUSED_PAD src0_sel:DWORD src1_sel:WORD_1
	v_mul_f16_sdwa v42, v25, v26 dst_sel:DWORD dst_unused:UNUSED_PAD src0_sel:DWORD src1_sel:WORD_1
	;; [unrolled: 1-line block ×24, first 2 shown]
	v_fmac_f16_e32 v41, v25, v26
	v_fma_f16 v7, v7, v26, -v42
	v_fmac_f16_e32 v43, v23, v27
	v_fmac_f16_e32 v49, v24, v2
	;; [unrolled: 1-line block ×3, first 2 shown]
	v_fma_f16 v22, v33, v3, -v52
	v_fma_f16 v13, v13, v27, -v44
	v_fmac_f16_e32 v45, v21, v28
	v_fma_f16 v14, v14, v28, -v46
	v_fmac_f16_e32 v47, v16, v29
	v_fma_f16 v16, v30, v29, -v48
	v_fma_f16 v21, v32, v2, -v50
	v_fmac_f16_e32 v53, v19, v26
	v_fma_f16 v19, v36, v26, -v54
	v_fmac_f16_e32 v55, v17, v27
	v_fmac_f16_e32 v61, v18, v2
	v_fmac_f16_e32 v63, v15, v3
	v_fma_f16 v3, v38, v3, -v64
	v_fma_f16 v17, v35, v27, -v56
	v_fmac_f16_e32 v57, v12, v28
	v_fma_f16 v12, v34, v28, -v58
	v_fmac_f16_e32 v59, v20, v29
	v_fma_f16 v20, v40, v29, -v60
	v_fma_f16 v2, v39, v2, -v62
	v_add_f16_e32 v15, v41, v51
	v_add_f16_e32 v18, v7, v22
	v_sub_f16_e32 v7, v7, v22
	v_add_f16_e32 v22, v43, v49
	v_add_f16_e32 v24, v13, v21
	v_sub_f16_e32 v13, v13, v21
	v_add_f16_e32 v26, v14, v16
	v_sub_f16_e32 v14, v16, v14
	v_add_f16_e32 v16, v53, v63
	v_add_f16_e32 v28, v19, v3
	v_sub_f16_e32 v3, v19, v3
	v_add_f16_e32 v19, v55, v61
	v_add_f16_e32 v21, v45, v47
	;; [unrolled: 1-line block ×4, first 2 shown]
	v_sub_f16_e32 v12, v20, v12
	v_add_f16_e32 v20, v22, v15
	v_sub_f16_e32 v2, v17, v2
	v_sub_f16_e32 v23, v41, v51
	;; [unrolled: 1-line block ×4, first 2 shown]
	v_add_f16_e32 v17, v57, v59
	v_add_f16_e32 v35, v24, v18
	v_sub_f16_e32 v38, v24, v18
	v_sub_f16_e32 v18, v18, v26
	;; [unrolled: 1-line block ×3, first 2 shown]
	v_add_f16_e32 v40, v14, v13
	v_sub_f16_e32 v42, v14, v13
	v_sub_f16_e32 v13, v13, v7
	v_add_f16_e32 v43, v19, v16
	v_sub_f16_e32 v29, v53, v63
	v_sub_f16_e32 v32, v55, v61
	;; [unrolled: 1-line block ×5, first 2 shown]
	v_add_f16_e32 v44, v30, v28
	v_add_f16_e32 v20, v21, v20
	v_sub_f16_e32 v22, v21, v22
	v_add_f16_e32 v48, v12, v2
	v_sub_f16_e32 v50, v12, v2
	v_sub_f16_e32 v2, v2, v3
	v_add_f16_e32 v39, v27, v25
	v_sub_f16_e32 v41, v27, v25
	v_sub_f16_e32 v14, v7, v14
	v_sub_f16_e32 v25, v25, v23
	v_sub_f16_e32 v45, v19, v16
	v_sub_f16_e32 v16, v16, v17
	v_sub_f16_e32 v19, v17, v19
	v_add_f16_e32 v21, v26, v35
	v_add_f16_e32 v7, v40, v7
	v_mul_f16_e32 v18, 0x3a52, v18
	v_mul_f16_e32 v35, 0x2b26, v24
	;; [unrolled: 1-line block ×4, first 2 shown]
	v_add_f16_e32 v17, v17, v43
	v_sub_f16_e32 v46, v30, v28
	v_sub_f16_e32 v28, v28, v33
	;; [unrolled: 1-line block ×3, first 2 shown]
	v_add_f16_e32 v47, v34, v32
	v_sub_f16_e32 v49, v34, v32
	v_sub_f16_e32 v32, v32, v29
	v_mul_f16_e32 v15, 0x3a52, v15
	v_add_f16_e32 v33, v33, v44
	v_add_f16_e32 v0, v0, v20
	v_sub_f16_e32 v12, v3, v12
	v_mul_f16_e32 v26, 0x2b26, v22
	v_add_f16_e32 v3, v48, v3
	v_mul_f16_e32 v48, 0x3846, v50
	v_mul_f16_e32 v50, 0xbb00, v2
	v_sub_f16_e32 v27, v23, v27
	v_add_f16_e32 v23, v39, v23
	v_mul_f16_e32 v39, 0x3846, v41
	v_mul_f16_e32 v41, 0xbb00, v25
	;; [unrolled: 1-line block ×4, first 2 shown]
	v_add_f16_e32 v31, v31, v21
	v_fmamk_f16 v24, v24, 0x2b26, v18
	v_fma_f16 v35, v38, 0x39e0, -v35
	v_fma_f16 v18, v38, 0xb9e0, -v18
	v_fmamk_f16 v38, v14, 0xb574, v40
	v_fma_f16 v13, v13, 0xbb00, -v40
	v_fma_f16 v14, v14, 0x3574, -v42
	v_add_f16_e32 v1, v1, v17
	v_sub_f16_e32 v34, v29, v34
	v_add_f16_e32 v29, v47, v29
	v_mul_f16_e32 v28, 0x3a52, v28
	v_mul_f16_e32 v44, 0x2b26, v30
	;; [unrolled: 1-line block ×4, first 2 shown]
	v_fmamk_f16 v22, v22, 0x2b26, v15
	v_add_f16_e32 v37, v37, v33
	v_fmamk_f16 v20, v20, 0xbcab, v0
	v_fma_f16 v15, v36, 0xb9e0, -v15
	v_fma_f16 v26, v36, 0x39e0, -v26
	v_fmamk_f16 v42, v12, 0xb574, v48
	v_fma_f16 v2, v2, 0xbb00, -v48
	v_fma_f16 v12, v12, 0x3574, -v50
	;; [unrolled: 3-line block ×4, first 2 shown]
	v_fmamk_f16 v21, v21, 0xbcab, v31
	v_fmac_f16_e32 v38, 0xb70e, v7
	v_fmac_f16_e32 v13, 0xb70e, v7
	;; [unrolled: 1-line block ×3, first 2 shown]
	v_fmamk_f16 v7, v17, 0xbcab, v1
	v_fmamk_f16 v30, v30, 0x2b26, v28
	v_fma_f16 v40, v46, 0x39e0, -v44
	v_fma_f16 v28, v46, 0xb9e0, -v28
	v_fmamk_f16 v41, v34, 0xb574, v47
	v_fma_f16 v32, v32, 0xbb00, -v47
	v_fma_f16 v34, v34, 0x3574, -v49
	v_fmamk_f16 v17, v33, 0xbcab, v37
	ds_write_b16 v11, v0
	ds_write_b16 v11, v1 offset:546
	v_add_f16_e32 v0, v22, v20
	v_add_f16_e32 v15, v15, v20
	v_fmac_f16_e32 v42, 0xb70e, v3
	v_fmac_f16_e32 v2, 0xb70e, v3
	;; [unrolled: 1-line block ×3, first 2 shown]
	v_add_f16_e32 v3, v26, v20
	v_fmac_f16_e32 v36, 0xb70e, v23
	v_fmac_f16_e32 v25, 0xb70e, v23
	;; [unrolled: 1-line block ×3, first 2 shown]
	v_add_f16_e32 v1, v24, v21
	v_add_f16_e32 v22, v35, v21
	;; [unrolled: 1-line block ×6, first 2 shown]
	v_fmac_f16_e32 v41, 0xb70e, v29
	v_fmac_f16_e32 v32, 0xb70e, v29
	;; [unrolled: 1-line block ×3, first 2 shown]
	v_add_f16_e32 v20, v30, v17
	v_add_f16_e32 v23, v40, v17
	;; [unrolled: 1-line block ×5, first 2 shown]
	v_sub_f16_e32 v29, v3, v13
	v_add_f16_e32 v3, v13, v3
	v_sub_f16_e32 v24, v1, v36
	v_sub_f16_e32 v28, v18, v27
	v_add_f16_e32 v30, v25, v22
	v_sub_f16_e32 v22, v22, v25
	;; [unrolled: 3-line block ×3, first 2 shown]
	v_add_f16_e32 v27, v36, v1
	v_add_f16_e32 v1, v42, v19
	;; [unrolled: 1-line block ×3, first 2 shown]
	v_sub_f16_e32 v15, v21, v2
	v_add_f16_e32 v2, v2, v21
	v_sub_f16_e32 v7, v7, v12
	v_sub_f16_e32 v12, v19, v42
	;; [unrolled: 1-line block ×4, first 2 shown]
	v_add_f16_e32 v36, v32, v23
	v_sub_f16_e32 v23, v23, v32
	v_add_f16_e32 v32, v34, v16
	v_add_f16_e32 v34, v41, v20
	ds_write_b16 v11, v17 offset:78
	ds_write_b16 v11, v26 offset:156
	;; [unrolled: 1-line block ×12, first 2 shown]
	s_waitcnt lgkmcnt(0)
	s_barrier
	buffer_gl0_inv
	ds_read_u16 v0, v10
	ds_read_u16 v1, v11 offset:78
	ds_read_u16 v2, v11 offset:156
	ds_read_u16 v3, v11 offset:234
	ds_read_u16 v12, v11 offset:312
	ds_read_u16 v13, v11 offset:390
	ds_read_u16 v15, v11 offset:546
	ds_read_u16 v14, v11 offset:468
	ds_read_u16 v16, v11 offset:624
	ds_read_u16 v17, v11 offset:702
	ds_read_u16 v18, v11 offset:780
	ds_read_u16 v19, v11 offset:858
	ds_read_u16 v20, v11 offset:936
	ds_read_u16 v21, v11 offset:1014
	s_waitcnt lgkmcnt(0)
	s_barrier
	buffer_gl0_inv
	ds_write_b16 v11, v31
	ds_write_b16 v11, v24 offset:78
	ds_write_b16 v11, v28 offset:156
	;; [unrolled: 1-line block ×13, first 2 shown]
	s_waitcnt lgkmcnt(0)
	s_barrier
	buffer_gl0_inv
	s_and_saveexec_b32 s0, vcc_lo
	s_cbranch_execz .LBB0_28
; %bb.27:
	v_mov_b32_e32 v7, 0
	v_add_nc_u32_e32 v24, 0x4e, v6
	v_add_nc_u32_e32 v25, 0x75, v6
	v_add_nc_u32_e32 v26, 0x9c, v6
	v_add_nc_u32_e32 v27, 0xc3, v6
	v_lshlrev_b64 v[22:23], 2, v[6:7]
	v_add_nc_u32_e32 v28, 0xea, v6
	v_mul_hi_u32 v30, 0xe01e01e1, v24
	v_mul_hi_u32 v31, 0xe01e01e1, v25
	v_lshlrev_b64 v[4:5], 2, v[4:5]
	v_mul_hi_u32 v33, 0xe01e01e1, v28
	v_add_co_u32 v22, vcc_lo, s12, v22
	v_add_co_ci_u32_e32 v23, vcc_lo, s13, v23, vcc_lo
	v_sub_nc_u32_e32 v35, v24, v30
	v_sub_nc_u32_e32 v36, v25, v31
	s_clause 0x6
	global_load_dword v7, v[22:23], off offset:1976
	global_load_dword v57, v[22:23], off offset:1820
	;; [unrolled: 1-line block ×7, first 2 shown]
	ds_read_u16 v63, v11 offset:1014
	ds_read_u16 v64, v11 offset:936
	;; [unrolled: 1-line block ×13, first 2 shown]
	ds_read_u16 v76, v10
	v_mul_hi_u32 v10, 0xe01e01e1, v6
	v_add_nc_u32_e32 v11, 39, v6
	v_mul_lo_u32 v22, s5, v8
	v_mul_lo_u32 v23, s4, v9
	v_mad_u64_u32 v[8:9], null, s4, v8, 0
	v_mul_hi_u32 v29, 0xe01e01e1, v11
	v_sub_nc_u32_e32 v39, v28, v33
	v_sub_nc_u32_e32 v32, v6, v10
	v_add3_u32 v9, v9, v23, v22
	v_mul_hi_u32 v22, 0xe01e01e1, v26
	v_mul_hi_u32 v23, 0xe01e01e1, v27
	v_lshrrev_b32_e32 v32, 1, v32
	v_sub_nc_u32_e32 v34, v11, v29
	v_lshlrev_b64 v[8:9], 2, v[8:9]
	v_add_nc_u32_e32 v10, v32, v10
	v_sub_nc_u32_e32 v37, v26, v22
	v_sub_nc_u32_e32 v38, v27, v23
	v_lshrrev_b32_e32 v32, 1, v34
	v_lshrrev_b32_e32 v34, 1, v35
	;; [unrolled: 1-line block ×5, first 2 shown]
	v_add_co_u32 v8, vcc_lo, s10, v8
	v_lshrrev_b32_e32 v10, 8, v10
	v_add_nc_u32_e32 v29, v32, v29
	v_lshrrev_b32_e32 v38, 1, v39
	v_add_nc_u32_e32 v30, v34, v30
	v_add_nc_u32_e32 v31, v35, v31
	v_add_co_ci_u32_e32 v9, vcc_lo, s11, v9, vcc_lo
	v_add_nc_u32_e32 v22, v36, v22
	v_add_nc_u32_e32 v23, v37, v23
	v_add_co_u32 v77, vcc_lo, v8, v4
	v_mul_u32_u24_e32 v4, 0x111, v10
	v_lshrrev_b32_e32 v10, 8, v29
	v_add_nc_u32_e32 v32, v38, v33
	v_lshrrev_b32_e32 v29, 8, v30
	v_lshrrev_b32_e32 v30, 8, v31
	;; [unrolled: 1-line block ×4, first 2 shown]
	v_sub_nc_u32_e32 v6, v6, v4
	v_mul_u32_u24_e32 v8, 0x111, v10
	v_lshrrev_b32_e32 v31, 8, v32
	v_add_co_ci_u32_e32 v78, vcc_lo, v9, v5, vcc_lo
	v_mul_u32_u24_e32 v9, 0x111, v29
	v_mul_u32_u24_e32 v32, 0x111, v30
	;; [unrolled: 1-line block ×4, first 2 shown]
	v_add_nc_u32_e32 v44, 0x111, v6
	v_sub_nc_u32_e32 v11, v11, v8
	v_mul_u32_u24_e32 v35, 0x111, v31
	v_sub_nc_u32_e32 v24, v24, v9
	v_sub_nc_u32_e32 v25, v25, v32
	v_mad_u64_u32 v[4:5], null, s2, v6, 0
	v_sub_nc_u32_e32 v26, v26, v33
	v_sub_nc_u32_e32 v27, v27, v34
	v_mad_u64_u32 v[8:9], null, s2, v44, 0
	v_mad_u32_u24 v46, 0x222, v10, v11
	v_sub_nc_u32_e32 v28, v28, v35
	v_mad_u32_u24 v47, 0x222, v29, v24
	v_mad_u32_u24 v48, 0x222, v30, v25
	;; [unrolled: 1-line block ×4, first 2 shown]
	v_mad_u64_u32 v[10:11], null, s2, v46, 0
	v_mad_u32_u24 v51, 0x222, v31, v28
	v_add_nc_u32_e32 v52, 0x111, v46
	v_mad_u64_u32 v[22:23], null, s2, v47, 0
	v_add_nc_u32_e32 v53, 0x111, v47
	v_mad_u64_u32 v[5:6], null, s3, v6, v[5:6]
	v_mad_u64_u32 v[24:25], null, s2, v48, 0
	v_add_nc_u32_e32 v54, 0x111, v48
	v_mov_b32_e32 v6, v9
	v_mad_u64_u32 v[26:27], null, s2, v49, 0
	v_mad_u64_u32 v[28:29], null, s2, v50, 0
	v_add_nc_u32_e32 v55, 0x111, v49
	v_mad_u64_u32 v[30:31], null, s2, v51, 0
	v_add_nc_u32_e32 v79, 0x111, v51
	v_mad_u64_u32 v[32:33], null, s2, v52, 0
	v_mad_u64_u32 v[34:35], null, s2, v53, 0
	;; [unrolled: 1-line block ×3, first 2 shown]
	v_add_nc_u32_e32 v56, 0x111, v50
	v_mov_b32_e32 v9, v23
	v_mad_u64_u32 v[38:39], null, s2, v55, 0
	v_mad_u64_u32 v[42:43], null, s2, v79, 0
	v_mov_b32_e32 v23, v27
	v_mad_u64_u32 v[40:41], null, s2, v56, 0
	v_mov_b32_e32 v27, v31
	v_lshlrev_b64 v[4:5], 2, v[4:5]
	v_add_co_u32 v4, vcc_lo, v77, v4
	v_add_co_ci_u32_e32 v5, vcc_lo, v78, v5, vcc_lo
	s_waitcnt vmcnt(6)
	v_mad_u64_u32 v[44:45], null, s3, v44, v[6:7]
	v_mov_b32_e32 v6, v11
	v_mov_b32_e32 v11, v25
	;; [unrolled: 1-line block ×4, first 2 shown]
	v_mad_u64_u32 v[45:46], null, s3, v46, v[6:7]
	v_mov_b32_e32 v6, v33
	v_mad_u64_u32 v[46:47], null, s3, v47, v[9:10]
	v_mad_u64_u32 v[47:48], null, s3, v48, v[11:12]
	v_mov_b32_e32 v11, v37
	v_mad_u64_u32 v[48:49], null, s3, v49, v[23:24]
	v_mad_u64_u32 v[49:50], null, s3, v50, v[25:26]
	v_mov_b32_e32 v9, v44
	v_mov_b32_e32 v23, v39
	v_mad_u64_u32 v[50:51], null, s3, v51, v[27:28]
	v_mov_b32_e32 v27, v43
	v_mad_u64_u32 v[43:44], null, s3, v52, v[6:7]
	v_mad_u64_u32 v[51:52], null, s3, v53, v[29:30]
	;; [unrolled: 1-line block ×3, first 2 shown]
	v_mov_b32_e32 v11, v45
	v_mov_b32_e32 v25, v41
	v_lshlrev_b64 v[8:9], 2, v[8:9]
	v_mad_u64_u32 v[53:54], null, s3, v55, v[23:24]
	v_mov_b32_e32 v23, v46
	v_lshlrev_b64 v[10:11], 2, v[10:11]
	v_mad_u64_u32 v[54:55], null, s3, v56, v[25:26]
	v_mov_b32_e32 v25, v47
	v_mad_u64_u32 v[55:56], null, s3, v79, v[27:28]
	v_lshlrev_b64 v[22:23], 2, v[22:23]
	v_add_co_u32 v8, vcc_lo, v77, v8
	v_mov_b32_e32 v27, v48
	v_add_co_ci_u32_e32 v9, vcc_lo, v78, v9, vcc_lo
	v_lshlrev_b64 v[24:25], 2, v[24:25]
	v_add_co_u32 v10, vcc_lo, v77, v10
	v_mov_b32_e32 v29, v49
	v_add_co_ci_u32_e32 v11, vcc_lo, v78, v11, vcc_lo
	v_lshlrev_b64 v[26:27], 2, v[26:27]
	v_add_co_u32 v22, vcc_lo, v77, v22
	v_mov_b32_e32 v31, v50
	v_mov_b32_e32 v33, v43
	;; [unrolled: 1-line block ×3, first 2 shown]
	v_add_co_ci_u32_e32 v23, vcc_lo, v78, v23, vcc_lo
	s_waitcnt vmcnt(0)
	v_lshrrev_b32_e32 v55, 16, v62
	v_lshlrev_b64 v[28:29], 2, v[28:29]
	v_add_co_u32 v24, vcc_lo, v77, v24
	v_mov_b32_e32 v39, v53
	v_lshrrev_b32_e32 v53, 16, v61
	v_add_co_ci_u32_e32 v25, vcc_lo, v78, v25, vcc_lo
	v_mov_b32_e32 v35, v51
	v_lshlrev_b64 v[30:31], 2, v[30:31]
	v_add_co_u32 v26, vcc_lo, v77, v26
	v_lshrrev_b32_e32 v51, 16, v60
	v_lshrrev_b32_e32 v6, 16, v7
	v_mul_f16_e32 v44, v21, v7
	v_lshrrev_b32_e32 v45, 16, v57
	v_lshrrev_b32_e32 v47, 16, v58
	v_mul_f16_e32 v48, v19, v58
	v_lshrrev_b32_e32 v49, 16, v59
	v_mul_f16_e32 v56, v15, v62
	v_mul_f16_e32 v15, v15, v55
	v_add_co_ci_u32_e32 v27, vcc_lo, v78, v27, vcc_lo
	v_mov_b32_e32 v41, v54
	v_lshlrev_b64 v[32:33], 2, v[32:33]
	v_add_co_u32 v28, vcc_lo, v77, v28
	v_mul_f16_e32 v54, v16, v61
	v_mul_f16_e32 v16, v16, v53
	v_mov_b32_e32 v37, v52
	v_add_co_ci_u32_e32 v29, vcc_lo, v78, v29, vcc_lo
	v_mul_f16_e32 v46, v20, v57
	v_mul_f16_e32 v52, v17, v60
	;; [unrolled: 1-line block ×3, first 2 shown]
	v_lshlrev_b64 v[34:35], 2, v[34:35]
	v_add_co_u32 v30, vcc_lo, v77, v30
	v_mul_f16_e32 v50, v18, v59
	s_waitcnt lgkmcnt(13)
	v_fmac_f16_e32 v44, v63, v6
	v_mul_f16_e32 v6, v21, v6
	v_mul_f16_e32 v20, v20, v45
	s_waitcnt lgkmcnt(11)
	v_fmac_f16_e32 v48, v65, v47
	v_mul_f16_e32 v19, v19, v47
	v_mul_f16_e32 v18, v18, v49
	s_waitcnt lgkmcnt(7)
	v_fmac_f16_e32 v56, v69, v55
	v_fma_f16 v15, v69, v62, -v15
	v_add_co_ci_u32_e32 v31, vcc_lo, v78, v31, vcc_lo
	v_fmac_f16_e32 v54, v68, v53
	v_fma_f16 v16, v68, v61, -v16
	v_lshlrev_b64 v[36:37], 2, v[36:37]
	v_add_co_u32 v32, vcc_lo, v77, v32
	v_fmac_f16_e32 v46, v64, v45
	v_fmac_f16_e32 v52, v67, v51
	v_fma_f16 v17, v67, v60, -v17
	v_add_co_ci_u32_e32 v33, vcc_lo, v78, v33, vcc_lo
	v_fmac_f16_e32 v50, v66, v49
	v_sub_f16_e32 v21, v14, v44
	v_fma_f16 v6, v63, v7, -v6
	v_fma_f16 v20, v64, v57, -v20
	v_sub_f16_e32 v44, v12, v48
	v_fma_f16 v19, v65, v58, -v19
	v_fma_f16 v18, v66, v59, -v18
	v_sub_f16_e32 v48, v0, v56
	s_waitcnt lgkmcnt(0)
	v_sub_f16_e32 v15, v76, v15
	v_lshlrev_b64 v[38:39], 2, v[38:39]
	v_add_co_u32 v34, vcc_lo, v77, v34
	v_sub_f16_e32 v47, v1, v54
	v_sub_f16_e32 v16, v75, v16
	v_add_co_ci_u32_e32 v35, vcc_lo, v78, v35, vcc_lo
	v_lshlrev_b64 v[40:41], 2, v[40:41]
	v_add_co_u32 v36, vcc_lo, v77, v36
	v_sub_f16_e32 v7, v13, v46
	v_sub_f16_e32 v46, v2, v52
	;; [unrolled: 1-line block ×8, first 2 shown]
	v_fma_f16 v0, v0, 2.0, -v48
	v_fma_f16 v55, v76, 2.0, -v15
	v_add_co_ci_u32_e32 v37, vcc_lo, v78, v37, vcc_lo
	v_lshlrev_b64 v[42:43], 2, v[42:43]
	v_add_co_u32 v38, vcc_lo, v77, v38
	v_fma_f16 v1, v1, 2.0, -v47
	v_fma_f16 v54, v75, 2.0, -v16
	v_add_co_ci_u32_e32 v39, vcc_lo, v78, v39, vcc_lo
	v_fma_f16 v2, v2, 2.0, -v46
	v_fma_f16 v53, v74, 2.0, -v17
	v_add_co_u32 v40, vcc_lo, v77, v40
	v_fma_f16 v14, v14, 2.0, -v21
	v_fma_f16 v13, v13, 2.0, -v7
	;; [unrolled: 1-line block ×8, first 2 shown]
	v_pack_b32_f16 v0, v0, v55
	v_pack_b32_f16 v15, v48, v15
	v_add_co_ci_u32_e32 v41, vcc_lo, v78, v41, vcc_lo
	v_pack_b32_f16 v1, v1, v54
	v_add_co_u32 v42, vcc_lo, v77, v42
	v_pack_b32_f16 v16, v47, v16
	v_pack_b32_f16 v2, v2, v53
	v_add_co_ci_u32_e32 v43, vcc_lo, v78, v43, vcc_lo
	v_pack_b32_f16 v17, v46, v17
	v_pack_b32_f16 v18, v45, v18
	;; [unrolled: 1-line block ×9, first 2 shown]
	global_store_dword v[4:5], v0, off
	global_store_dword v[8:9], v15, off
	;; [unrolled: 1-line block ×14, first 2 shown]
.LBB0_28:
	s_endpgm
	.section	.rodata,"a",@progbits
	.p2align	6, 0x0
	.amdhsa_kernel fft_rtc_back_len546_factors_13_3_7_2_wgs_117_tpt_39_halfLds_half_op_CI_CI_sbrr_dirReg
		.amdhsa_group_segment_fixed_size 0
		.amdhsa_private_segment_fixed_size 0
		.amdhsa_kernarg_size 104
		.amdhsa_user_sgpr_count 6
		.amdhsa_user_sgpr_private_segment_buffer 1
		.amdhsa_user_sgpr_dispatch_ptr 0
		.amdhsa_user_sgpr_queue_ptr 0
		.amdhsa_user_sgpr_kernarg_segment_ptr 1
		.amdhsa_user_sgpr_dispatch_id 0
		.amdhsa_user_sgpr_flat_scratch_init 0
		.amdhsa_user_sgpr_private_segment_size 0
		.amdhsa_wavefront_size32 1
		.amdhsa_uses_dynamic_stack 0
		.amdhsa_system_sgpr_private_segment_wavefront_offset 0
		.amdhsa_system_sgpr_workgroup_id_x 1
		.amdhsa_system_sgpr_workgroup_id_y 0
		.amdhsa_system_sgpr_workgroup_id_z 0
		.amdhsa_system_sgpr_workgroup_info 0
		.amdhsa_system_vgpr_workitem_id 0
		.amdhsa_next_free_vgpr 122
		.amdhsa_next_free_sgpr 31
		.amdhsa_reserve_vcc 1
		.amdhsa_reserve_flat_scratch 0
		.amdhsa_float_round_mode_32 0
		.amdhsa_float_round_mode_16_64 0
		.amdhsa_float_denorm_mode_32 3
		.amdhsa_float_denorm_mode_16_64 3
		.amdhsa_dx10_clamp 1
		.amdhsa_ieee_mode 1
		.amdhsa_fp16_overflow 0
		.amdhsa_workgroup_processor_mode 1
		.amdhsa_memory_ordered 1
		.amdhsa_forward_progress 0
		.amdhsa_shared_vgpr_count 0
		.amdhsa_exception_fp_ieee_invalid_op 0
		.amdhsa_exception_fp_denorm_src 0
		.amdhsa_exception_fp_ieee_div_zero 0
		.amdhsa_exception_fp_ieee_overflow 0
		.amdhsa_exception_fp_ieee_underflow 0
		.amdhsa_exception_fp_ieee_inexact 0
		.amdhsa_exception_int_div_zero 0
	.end_amdhsa_kernel
	.text
.Lfunc_end0:
	.size	fft_rtc_back_len546_factors_13_3_7_2_wgs_117_tpt_39_halfLds_half_op_CI_CI_sbrr_dirReg, .Lfunc_end0-fft_rtc_back_len546_factors_13_3_7_2_wgs_117_tpt_39_halfLds_half_op_CI_CI_sbrr_dirReg
                                        ; -- End function
	.section	.AMDGPU.csdata,"",@progbits
; Kernel info:
; codeLenInByte = 14096
; NumSgprs: 33
; NumVgprs: 122
; ScratchSize: 0
; MemoryBound: 0
; FloatMode: 240
; IeeeMode: 1
; LDSByteSize: 0 bytes/workgroup (compile time only)
; SGPRBlocks: 4
; VGPRBlocks: 15
; NumSGPRsForWavesPerEU: 33
; NumVGPRsForWavesPerEU: 122
; Occupancy: 8
; WaveLimiterHint : 1
; COMPUTE_PGM_RSRC2:SCRATCH_EN: 0
; COMPUTE_PGM_RSRC2:USER_SGPR: 6
; COMPUTE_PGM_RSRC2:TRAP_HANDLER: 0
; COMPUTE_PGM_RSRC2:TGID_X_EN: 1
; COMPUTE_PGM_RSRC2:TGID_Y_EN: 0
; COMPUTE_PGM_RSRC2:TGID_Z_EN: 0
; COMPUTE_PGM_RSRC2:TIDIG_COMP_CNT: 0
	.text
	.p2alignl 6, 3214868480
	.fill 48, 4, 3214868480
	.type	__hip_cuid_dd794903428b16db,@object ; @__hip_cuid_dd794903428b16db
	.section	.bss,"aw",@nobits
	.globl	__hip_cuid_dd794903428b16db
__hip_cuid_dd794903428b16db:
	.byte	0                               ; 0x0
	.size	__hip_cuid_dd794903428b16db, 1

	.ident	"AMD clang version 19.0.0git (https://github.com/RadeonOpenCompute/llvm-project roc-6.4.0 25133 c7fe45cf4b819c5991fe208aaa96edf142730f1d)"
	.section	".note.GNU-stack","",@progbits
	.addrsig
	.addrsig_sym __hip_cuid_dd794903428b16db
	.amdgpu_metadata
---
amdhsa.kernels:
  - .args:
      - .actual_access:  read_only
        .address_space:  global
        .offset:         0
        .size:           8
        .value_kind:     global_buffer
      - .offset:         8
        .size:           8
        .value_kind:     by_value
      - .actual_access:  read_only
        .address_space:  global
        .offset:         16
        .size:           8
        .value_kind:     global_buffer
      - .actual_access:  read_only
        .address_space:  global
        .offset:         24
        .size:           8
        .value_kind:     global_buffer
      - .actual_access:  read_only
        .address_space:  global
        .offset:         32
        .size:           8
        .value_kind:     global_buffer
      - .offset:         40
        .size:           8
        .value_kind:     by_value
      - .actual_access:  read_only
        .address_space:  global
        .offset:         48
        .size:           8
        .value_kind:     global_buffer
      - .actual_access:  read_only
        .address_space:  global
        .offset:         56
        .size:           8
        .value_kind:     global_buffer
      - .offset:         64
        .size:           4
        .value_kind:     by_value
      - .actual_access:  read_only
        .address_space:  global
        .offset:         72
        .size:           8
        .value_kind:     global_buffer
      - .actual_access:  read_only
        .address_space:  global
        .offset:         80
        .size:           8
        .value_kind:     global_buffer
      - .actual_access:  read_only
        .address_space:  global
        .offset:         88
        .size:           8
        .value_kind:     global_buffer
      - .actual_access:  write_only
        .address_space:  global
        .offset:         96
        .size:           8
        .value_kind:     global_buffer
    .group_segment_fixed_size: 0
    .kernarg_segment_align: 8
    .kernarg_segment_size: 104
    .language:       OpenCL C
    .language_version:
      - 2
      - 0
    .max_flat_workgroup_size: 117
    .name:           fft_rtc_back_len546_factors_13_3_7_2_wgs_117_tpt_39_halfLds_half_op_CI_CI_sbrr_dirReg
    .private_segment_fixed_size: 0
    .sgpr_count:     33
    .sgpr_spill_count: 0
    .symbol:         fft_rtc_back_len546_factors_13_3_7_2_wgs_117_tpt_39_halfLds_half_op_CI_CI_sbrr_dirReg.kd
    .uniform_work_group_size: 1
    .uses_dynamic_stack: false
    .vgpr_count:     122
    .vgpr_spill_count: 0
    .wavefront_size: 32
    .workgroup_processor_mode: 1
amdhsa.target:   amdgcn-amd-amdhsa--gfx1030
amdhsa.version:
  - 1
  - 2
...

	.end_amdgpu_metadata
